;; amdgpu-corpus repo=ROCm/rocFFT kind=compiled arch=gfx906 opt=O3
	.text
	.amdgcn_target "amdgcn-amd-amdhsa--gfx906"
	.amdhsa_code_object_version 6
	.protected	bluestein_single_back_len187_dim1_half_op_CI_CI ; -- Begin function bluestein_single_back_len187_dim1_half_op_CI_CI
	.globl	bluestein_single_back_len187_dim1_half_op_CI_CI
	.p2align	8
	.type	bluestein_single_back_len187_dim1_half_op_CI_CI,@function
bluestein_single_back_len187_dim1_half_op_CI_CI: ; @bluestein_single_back_len187_dim1_half_op_CI_CI
; %bb.0:
	v_mul_u32_u24_e32 v1, 0xf10, v0
	s_load_dwordx4 s[0:3], s[4:5], 0x28
	v_lshrrev_b32_e32 v1, 16, v1
	v_mad_u64_u32 v[8:9], s[6:7], s6, 7, v[1:2]
	v_mov_b32_e32 v9, 0
	s_waitcnt lgkmcnt(0)
	v_cmp_gt_u64_e32 vcc, s[0:1], v[8:9]
	s_and_saveexec_b64 s[0:1], vcc
	s_cbranch_execz .LBB0_15
; %bb.1:
	s_mov_b32 s0, 0x24924925
	v_mul_hi_u32 v2, v8, s0
	s_load_dwordx2 s[6:7], s[4:5], 0x0
	s_load_dwordx2 s[12:13], s[4:5], 0x38
	v_mul_lo_u16_e32 v1, 17, v1
	v_sub_u16_e32 v27, v0, v1
	v_sub_u32_e32 v3, v8, v2
	v_lshrrev_b32_e32 v3, 1, v3
	v_add_u32_e32 v2, v3, v2
	v_lshrrev_b32_e32 v2, 2, v2
	v_mul_lo_u32 v2, v2, 7
	v_cmp_gt_u16_e32 vcc, 11, v27
	v_lshlrev_b32_e32 v28, 2, v27
	v_sub_u32_e32 v0, v8, v2
	v_mul_u32_u24_e32 v13, 0xbb, v0
	v_lshlrev_b32_e32 v30, 2, v13
	s_and_saveexec_b64 s[14:15], vcc
	s_cbranch_execz .LBB0_3
; %bb.2:
	s_load_dwordx2 s[0:1], s[4:5], 0x18
	v_lshl_add_u32 v14, v27, 2, v30
	v_add_u32_e32 v15, v30, v28
	s_waitcnt lgkmcnt(0)
	s_load_dwordx4 s[8:11], s[0:1], 0x0
	s_waitcnt lgkmcnt(0)
	v_mad_u64_u32 v[0:1], s[0:1], s10, v8, 0
	v_mad_u64_u32 v[2:3], s[0:1], s8, v27, 0
	;; [unrolled: 1-line block ×4, first 2 shown]
	v_mov_b32_e32 v1, v4
	v_lshlrev_b64 v[0:1], 2, v[0:1]
	v_mov_b32_e32 v3, v5
	v_mov_b32_e32 v6, s3
	v_lshlrev_b64 v[2:3], 2, v[2:3]
	v_add_co_u32_e64 v5, s[0:1], s2, v0
	v_addc_co_u32_e64 v6, s[0:1], v6, v1, s[0:1]
	v_add_co_u32_e64 v0, s[0:1], v5, v2
	v_addc_co_u32_e64 v1, s[0:1], v6, v3, s[0:1]
	s_mul_i32 s0, s9, 44
	s_mul_hi_u32 s3, s8, 44
	s_add_i32 s3, s3, s0
	s_mul_i32 s2, s8, 44
	v_mov_b32_e32 v3, s3
	v_add_co_u32_e64 v2, s[0:1], s2, v0
	v_addc_co_u32_e64 v3, s[0:1], v1, v3, s[0:1]
	global_load_dword v4, v[0:1], off
	global_load_dword v7, v[2:3], off
	global_load_dword v9, v28, s[6:7]
	global_load_dword v10, v28, s[6:7] offset:44
	v_mov_b32_e32 v1, s3
	v_add_co_u32_e64 v0, s[0:1], s2, v2
	v_addc_co_u32_e64 v1, s[0:1], v3, v1, s[0:1]
	global_load_dword v2, v[0:1], off
	global_load_dword v3, v28, s[6:7] offset:88
	v_mov_b32_e32 v11, s3
	v_add_co_u32_e64 v0, s[0:1], s2, v0
	v_addc_co_u32_e64 v1, s[0:1], v1, v11, s[0:1]
	global_load_dword v11, v[0:1], off
	global_load_dword v12, v28, s[6:7] offset:132
	v_mov_b32_e32 v20, s3
	v_add_co_u32_e64 v0, s[0:1], s2, v0
	v_addc_co_u32_e64 v1, s[0:1], v1, v20, s[0:1]
	global_load_dword v16, v28, s[6:7] offset:176
	global_load_dword v17, v28, s[6:7] offset:220
	;; [unrolled: 1-line block ×4, first 2 shown]
	global_load_dword v20, v[0:1], off
	v_mov_b32_e32 v21, s3
	v_add_co_u32_e64 v0, s[0:1], s2, v0
	v_addc_co_u32_e64 v1, s[0:1], v1, v21, s[0:1]
	global_load_dword v21, v[0:1], off
	v_mov_b32_e32 v22, s3
	v_add_co_u32_e64 v0, s[0:1], s2, v0
	v_addc_co_u32_e64 v1, s[0:1], v1, v22, s[0:1]
	;; [unrolled: 4-line block ×3, first 2 shown]
	v_mov_b32_e32 v24, s3
	global_load_dword v23, v[0:1], off
	v_add_co_u32_e64 v0, s[0:1], s2, v0
	v_addc_co_u32_e64 v1, s[0:1], v1, v24, s[0:1]
	v_mov_b32_e32 v33, s3
	s_waitcnt vmcnt(15)
	v_lshrrev_b32_e32 v25, 16, v4
	s_waitcnt vmcnt(13)
	v_mul_f16_sdwa v26, v9, v4 dst_sel:DWORD dst_unused:UNUSED_PAD src0_sel:WORD_1 src1_sel:DWORD
	v_mul_f16_sdwa v29, v9, v25 dst_sel:DWORD dst_unused:UNUSED_PAD src0_sel:WORD_1 src1_sel:DWORD
	v_fma_f16 v25, v9, v25, -v26
	v_lshrrev_b32_e32 v26, 16, v7
	s_waitcnt vmcnt(12)
	v_mul_f16_sdwa v31, v10, v7 dst_sel:DWORD dst_unused:UNUSED_PAD src0_sel:WORD_1 src1_sel:DWORD
	v_fma_f16 v4, v9, v4, v29
	v_mul_f16_sdwa v9, v10, v26 dst_sel:DWORD dst_unused:UNUSED_PAD src0_sel:WORD_1 src1_sel:DWORD
	s_waitcnt vmcnt(11)
	v_lshrrev_b32_e32 v29, 16, v2
	v_fma_f16 v26, v10, v26, -v31
	s_waitcnt vmcnt(10)
	v_mul_f16_sdwa v31, v3, v2 dst_sel:DWORD dst_unused:UNUSED_PAD src0_sel:WORD_1 src1_sel:DWORD
	v_fma_f16 v7, v10, v7, v9
	v_mul_f16_sdwa v9, v3, v29 dst_sel:DWORD dst_unused:UNUSED_PAD src0_sel:WORD_1 src1_sel:DWORD
	v_pack_b32_f16 v4, v4, v25
	v_fma_f16 v10, v3, v29, -v31
	v_fma_f16 v2, v3, v2, v9
	ds_write_b32 v14, v4
	v_pack_b32_f16 v4, v7, v26
	v_pack_b32_f16 v2, v2, v10
	s_waitcnt vmcnt(9)
	v_lshrrev_b32_e32 v25, 16, v11
	ds_write2_b32 v15, v4, v2 offset0:11 offset1:22
	global_load_dword v9, v[0:1], off
	v_mov_b32_e32 v2, s3
	v_add_co_u32_e64 v0, s[0:1], s2, v0
	s_waitcnt vmcnt(9)
	v_mul_f16_sdwa v3, v12, v25 dst_sel:DWORD dst_unused:UNUSED_PAD src0_sel:WORD_1 src1_sel:DWORD
	v_addc_co_u32_e64 v1, s[0:1], v1, v2, s[0:1]
	v_mul_f16_sdwa v29, v12, v11 dst_sel:DWORD dst_unused:UNUSED_PAD src0_sel:WORD_1 src1_sel:DWORD
	v_fma_f16 v3, v12, v11, v3
	global_load_dword v10, v[0:1], off
	global_load_dword v11, v28, s[6:7] offset:352
	v_add_co_u32_e64 v0, s[0:1], s2, v0
	v_addc_co_u32_e64 v1, s[0:1], v1, v2, s[0:1]
	v_fma_f16 v7, v12, v25, -v29
	global_load_dword v12, v[0:1], off
	v_add_co_u32_e64 v0, s[0:1], s2, v0
	v_addc_co_u32_e64 v1, s[0:1], v1, v2, s[0:1]
	global_load_dword v14, v28, s[6:7] offset:396
	global_load_dword v24, v[0:1], off
	global_load_dword v25, v28, s[6:7] offset:440
	v_add_co_u32_e64 v0, s[0:1], s2, v0
	v_addc_co_u32_e64 v1, s[0:1], v1, v2, s[0:1]
	global_load_dword v26, v[0:1], off
	global_load_dword v29, v28, s[6:7] offset:484
	global_load_dword v31, v28, s[6:7] offset:528
	v_add_co_u32_e64 v0, s[0:1], s2, v0
	v_addc_co_u32_e64 v1, s[0:1], v1, v2, s[0:1]
	global_load_dword v32, v[0:1], off
	v_add_co_u32_e64 v0, s[0:1], s2, v0
	v_or_b32_e32 v4, 0xb0, v27
	v_pack_b32_f16 v7, v3, v7
	v_addc_co_u32_e64 v1, s[0:1], v1, v2, s[0:1]
	v_mad_u64_u32 v[2:3], s[0:1], s8, v4, 0
	global_load_dword v34, v28, s[6:7] offset:572
	global_load_dword v35, v[0:1], off
	v_mad_u64_u32 v[3:4], s[0:1], s9, v4, v[3:4]
	global_load_dword v4, v28, s[6:7] offset:616
	v_add_co_u32_e64 v0, s[0:1], s2, v0
	v_addc_co_u32_e64 v1, s[0:1], v1, v33, s[0:1]
	global_load_dword v33, v[0:1], off
	global_load_dword v36, v28, s[6:7] offset:660
	v_lshlrev_b64 v[0:1], 2, v[2:3]
	v_add_co_u32_e64 v0, s[0:1], v5, v0
	v_addc_co_u32_e64 v1, s[0:1], v6, v1, s[0:1]
	global_load_dword v2, v[0:1], off
	global_load_dword v3, v28, s[6:7] offset:704
	s_waitcnt vmcnt(21)
	v_lshrrev_b32_e32 v0, 16, v20
	v_mul_f16_sdwa v1, v16, v0 dst_sel:DWORD dst_unused:UNUSED_PAD src0_sel:WORD_1 src1_sel:DWORD
	v_mul_f16_sdwa v5, v16, v20 dst_sel:DWORD dst_unused:UNUSED_PAD src0_sel:WORD_1 src1_sel:DWORD
	v_fma_f16 v1, v16, v20, v1
	v_fma_f16 v0, v16, v0, -v5
	v_pack_b32_f16 v0, v1, v0
	ds_write2_b32 v15, v7, v0 offset0:33 offset1:44
	s_waitcnt vmcnt(20)
	v_lshrrev_b32_e32 v0, 16, v21
	v_mul_f16_sdwa v1, v17, v0 dst_sel:DWORD dst_unused:UNUSED_PAD src0_sel:WORD_1 src1_sel:DWORD
	v_mul_f16_sdwa v5, v17, v21 dst_sel:DWORD dst_unused:UNUSED_PAD src0_sel:WORD_1 src1_sel:DWORD
	v_fma_f16 v1, v17, v21, v1
	v_fma_f16 v0, v17, v0, -v5
	v_pack_b32_f16 v0, v1, v0
	s_waitcnt vmcnt(19)
	v_lshrrev_b32_e32 v1, 16, v22
	v_mul_f16_sdwa v5, v18, v1 dst_sel:DWORD dst_unused:UNUSED_PAD src0_sel:WORD_1 src1_sel:DWORD
	v_mul_f16_sdwa v6, v18, v22 dst_sel:DWORD dst_unused:UNUSED_PAD src0_sel:WORD_1 src1_sel:DWORD
	v_fma_f16 v5, v18, v22, v5
	v_fma_f16 v1, v18, v1, -v6
	v_pack_b32_f16 v1, v5, v1
	ds_write2_b32 v15, v0, v1 offset0:55 offset1:66
	s_waitcnt vmcnt(18)
	v_lshrrev_b32_e32 v0, 16, v23
	v_mul_f16_sdwa v1, v19, v0 dst_sel:DWORD dst_unused:UNUSED_PAD src0_sel:WORD_1 src1_sel:DWORD
	v_mul_f16_sdwa v5, v19, v23 dst_sel:DWORD dst_unused:UNUSED_PAD src0_sel:WORD_1 src1_sel:DWORD
	v_fma_f16 v1, v19, v23, v1
	v_fma_f16 v0, v19, v0, -v5
	v_pack_b32_f16 v0, v1, v0
	s_waitcnt vmcnt(17)
	v_lshrrev_b32_e32 v1, 16, v9
	s_waitcnt vmcnt(15)
	v_mul_f16_sdwa v5, v11, v1 dst_sel:DWORD dst_unused:UNUSED_PAD src0_sel:WORD_1 src1_sel:DWORD
	v_mul_f16_sdwa v6, v11, v9 dst_sel:DWORD dst_unused:UNUSED_PAD src0_sel:WORD_1 src1_sel:DWORD
	v_fma_f16 v5, v11, v9, v5
	v_fma_f16 v1, v11, v1, -v6
	v_pack_b32_f16 v1, v5, v1
	ds_write2_b32 v15, v0, v1 offset0:77 offset1:88
	v_lshrrev_b32_e32 v0, 16, v10
	s_waitcnt vmcnt(13)
	v_mul_f16_sdwa v1, v14, v0 dst_sel:DWORD dst_unused:UNUSED_PAD src0_sel:WORD_1 src1_sel:DWORD
	v_mul_f16_sdwa v5, v14, v10 dst_sel:DWORD dst_unused:UNUSED_PAD src0_sel:WORD_1 src1_sel:DWORD
	v_fma_f16 v1, v14, v10, v1
	v_fma_f16 v0, v14, v0, -v5
	v_pack_b32_f16 v0, v1, v0
	v_lshrrev_b32_e32 v1, 16, v12
	s_waitcnt vmcnt(11)
	v_mul_f16_sdwa v5, v25, v1 dst_sel:DWORD dst_unused:UNUSED_PAD src0_sel:WORD_1 src1_sel:DWORD
	v_mul_f16_sdwa v6, v25, v12 dst_sel:DWORD dst_unused:UNUSED_PAD src0_sel:WORD_1 src1_sel:DWORD
	v_fma_f16 v5, v25, v12, v5
	v_fma_f16 v1, v25, v1, -v6
	v_pack_b32_f16 v1, v5, v1
	ds_write2_b32 v15, v0, v1 offset0:99 offset1:110
	v_lshrrev_b32_e32 v0, 16, v24
	s_waitcnt vmcnt(9)
	v_mul_f16_sdwa v1, v29, v0 dst_sel:DWORD dst_unused:UNUSED_PAD src0_sel:WORD_1 src1_sel:DWORD
	v_mul_f16_sdwa v5, v29, v24 dst_sel:DWORD dst_unused:UNUSED_PAD src0_sel:WORD_1 src1_sel:DWORD
	v_fma_f16 v1, v29, v24, v1
	v_fma_f16 v0, v29, v0, -v5
	v_pack_b32_f16 v0, v1, v0
	v_lshrrev_b32_e32 v1, 16, v26
	s_waitcnt vmcnt(8)
	v_mul_f16_sdwa v5, v31, v1 dst_sel:DWORD dst_unused:UNUSED_PAD src0_sel:WORD_1 src1_sel:DWORD
	v_mul_f16_sdwa v6, v31, v26 dst_sel:DWORD dst_unused:UNUSED_PAD src0_sel:WORD_1 src1_sel:DWORD
	v_fma_f16 v5, v31, v26, v5
	v_fma_f16 v1, v31, v1, -v6
	v_pack_b32_f16 v1, v5, v1
	ds_write2_b32 v15, v0, v1 offset0:121 offset1:132
	s_waitcnt vmcnt(7)
	v_lshrrev_b32_e32 v0, 16, v32
	s_waitcnt vmcnt(6)
	v_mul_f16_sdwa v1, v34, v0 dst_sel:DWORD dst_unused:UNUSED_PAD src0_sel:WORD_1 src1_sel:DWORD
	v_mul_f16_sdwa v5, v34, v32 dst_sel:DWORD dst_unused:UNUSED_PAD src0_sel:WORD_1 src1_sel:DWORD
	v_fma_f16 v1, v34, v32, v1
	v_fma_f16 v0, v34, v0, -v5
	v_pack_b32_f16 v0, v1, v0
	s_waitcnt vmcnt(5)
	v_lshrrev_b32_e32 v1, 16, v35
	s_waitcnt vmcnt(4)
	v_mul_f16_sdwa v5, v4, v1 dst_sel:DWORD dst_unused:UNUSED_PAD src0_sel:WORD_1 src1_sel:DWORD
	v_mul_f16_sdwa v6, v4, v35 dst_sel:DWORD dst_unused:UNUSED_PAD src0_sel:WORD_1 src1_sel:DWORD
	v_fma_f16 v5, v4, v35, v5
	v_fma_f16 v1, v4, v1, -v6
	v_pack_b32_f16 v1, v5, v1
	ds_write2_b32 v15, v0, v1 offset0:143 offset1:154
	s_waitcnt vmcnt(3)
	v_lshrrev_b32_e32 v0, 16, v33
	s_waitcnt vmcnt(2)
	v_mul_f16_sdwa v1, v36, v0 dst_sel:DWORD dst_unused:UNUSED_PAD src0_sel:WORD_1 src1_sel:DWORD
	v_mul_f16_sdwa v4, v36, v33 dst_sel:DWORD dst_unused:UNUSED_PAD src0_sel:WORD_1 src1_sel:DWORD
	v_fma_f16 v1, v36, v33, v1
	v_fma_f16 v0, v36, v0, -v4
	v_pack_b32_f16 v0, v1, v0
	s_waitcnt vmcnt(1)
	v_lshrrev_b32_e32 v1, 16, v2
	s_waitcnt vmcnt(0)
	v_mul_f16_sdwa v4, v3, v1 dst_sel:DWORD dst_unused:UNUSED_PAD src0_sel:WORD_1 src1_sel:DWORD
	v_fma_f16 v4, v3, v2, v4
	v_mul_f16_sdwa v2, v3, v2 dst_sel:DWORD dst_unused:UNUSED_PAD src0_sel:WORD_1 src1_sel:DWORD
	v_fma_f16 v1, v3, v1, -v2
	v_pack_b32_f16 v1, v4, v1
	ds_write2_b32 v15, v0, v1 offset0:165 offset1:176
.LBB0_3:
	s_or_b64 exec, exec, s[14:15]
	s_load_dwordx2 s[2:3], s[4:5], 0x20
	s_load_dwordx2 s[0:1], s[4:5], 0x8
	s_waitcnt lgkmcnt(0)
	s_barrier
	s_waitcnt lgkmcnt(0)
                                        ; implicit-def: $vgpr0
                                        ; implicit-def: $vgpr3
                                        ; implicit-def: $vgpr23
                                        ; implicit-def: $vgpr17
                                        ; implicit-def: $vgpr24
                                        ; implicit-def: $vgpr44
                                        ; implicit-def: $vgpr19
                                        ; implicit-def: $vgpr46
                                        ; implicit-def: $vgpr47
                                        ; implicit-def: $vgpr21
                                        ; implicit-def: $vgpr48
                                        ; implicit-def: $vgpr49
                                        ; implicit-def: $vgpr29
                                        ; implicit-def: $vgpr50
                                        ; implicit-def: $vgpr42
                                        ; implicit-def: $vgpr16
                                        ; implicit-def: $vgpr45
                                        ; implicit-def: $vgpr39
                                        ; implicit-def: $vgpr7
                                        ; implicit-def: $vgpr41
                                        ; implicit-def: $vgpr25
                                        ; implicit-def: $vgpr5
                                        ; implicit-def: $vgpr26
                                        ; implicit-def: $vgpr40
                                        ; implicit-def: $vgpr43
	s_and_saveexec_b64 s[4:5], vcc
	s_cbranch_execz .LBB0_5
; %bb.4:
	v_lshl_add_u32 v9, v13, 2, v28
	ds_read2_b32 v[0:1], v9 offset1:11
	ds_read2_b32 v[4:5], v9 offset0:22 offset1:33
	ds_read2_b32 v[6:7], v9 offset0:44 offset1:55
	;; [unrolled: 1-line block ×7, first 2 shown]
	ds_read_b32 v29, v9 offset:704
	s_waitcnt lgkmcnt(8)
	v_lshrrev_b32_e32 v43, 16, v1
	s_waitcnt lgkmcnt(7)
	v_lshrrev_b32_e32 v40, 16, v4
	v_lshrrev_b32_e32 v26, 16, v5
	s_waitcnt lgkmcnt(6)
	v_lshrrev_b32_e32 v25, 16, v6
	;; [unrolled: 3-line block ×8, first 2 shown]
.LBB0_5:
	s_or_b64 exec, exec, s[4:5]
	v_sub_f16_e32 v68, v43, v50
	v_add_f16_e32 v51, v29, v1
	s_movk_i32 s8, 0x39e9
	v_mul_f16_e32 v54, 0xb964, v68
	v_sub_f16_e32 v73, v40, v49
	v_fma_f16 v9, v51, s8, v54
	s_movk_i32 s9, 0x2de8
	v_add_f16_e32 v52, v22, v4
	v_mul_f16_e32 v56, 0xbbf7, v73
	v_add_f16_e32 v9, v9, v0
	v_fma_f16 v10, v52, s9, v56
	s_movk_i32 s10, 0x3722
	v_mul_f16_e32 v58, 0xbb29, v68
	v_add_f16_e32 v9, v10, v9
	v_fma_f16 v10, v51, s10, v58
	s_mov_b32 s11, 0xb8d2
	v_mul_f16_e32 v59, 0xba62, v73
	v_sub_f16_e32 v78, v26, v48
	v_add_f16_e32 v10, v10, v0
	v_fma_f16 v11, v52, s11, v59
	v_add_f16_e32 v53, v21, v5
	v_mul_f16_e32 v60, 0xba62, v78
	v_add_f16_e32 v10, v11, v10
	v_fma_f16 v11, v53, s11, v60
	s_mov_b32 s14, 0xbbdd
	v_mul_f16_e32 v62, 0x31e1, v78
	v_sub_f16_e32 v82, v25, v47
	v_add_f16_e32 v9, v11, v9
	v_fma_f16 v11, v53, s14, v62
	v_add_f16_e32 v55, v20, v6
	v_mul_f16_e32 v63, 0xb1e1, v82
	v_add_f16_e32 v10, v11, v10
	v_fma_f16 v11, v55, s14, v63
	s_mov_b32 s15, 0xb461
	v_mul_f16_e32 v65, 0x3bb2, v82
	v_sub_f16_e32 v87, v41, v46
	v_add_f16_e32 v9, v11, v9
	v_fma_f16 v11, v55, s15, v65
	s_mov_b32 s16, 0xbacd
	v_add_f16_e32 v57, v19, v7
	v_mul_f16_e32 v66, 0x3836, v87
	v_add_f16_e32 v10, v11, v10
	v_fma_f16 v11, v57, s16, v66
	v_mul_f16_e32 v69, 0x3964, v87
	v_sub_f16_e32 v103, v39, v44
	v_add_f16_e32 v9, v11, v9
	v_fma_f16 v11, v57, s8, v69
	v_add_f16_e32 v61, v18, v15
	v_mul_f16_e32 v70, 0x3bb2, v103
	v_add_f16_e32 v10, v11, v10
	v_fma_f16 v11, v61, s15, v70
	s_movk_i32 s17, 0x3b76
	v_mul_f16_e32 v71, 0xb5c8, v103
	v_sub_f16_e32 v118, v45, v24
	v_add_f16_e32 v9, v11, v9
	v_fma_f16 v11, v61, s17, v71
	v_add_f16_e32 v64, v17, v16
	v_mul_f16_e32 v72, 0x3b29, v118
	v_add_f16_e32 v10, v11, v10
	v_fma_f16 v11, v64, s10, v72
	v_mul_f16_e32 v74, 0xbbf7, v118
	v_sub_f16_e32 v129, v42, v23
	v_add_f16_e32 v9, v11, v9
	v_fma_f16 v11, v64, s9, v74
	v_add_f16_e32 v67, v3, v2
	v_mul_f16_e32 v75, 0x35c8, v129
	v_add_f16_e32 v11, v11, v10
	v_fma_f16 v10, v67, s17, v75
	v_mul_f16_e32 v79, 0xb836, v129
	v_add_f16_e32 v10, v10, v9
	v_fma_f16 v9, v67, s16, v79
	;; [unrolled: 3-line block ×19, first 2 shown]
	v_mul_f16_e32 v81, 0xb964, v73
	v_sub_f16_e32 v157, v1, v29
	v_add_f16_e32 v14, v14, v0
	v_fma_f16 v31, v52, s8, v81
	v_add_f16_e32 v76, v50, v43
	v_mul_f16_e32 v84, 0xb5c8, v157
	v_sub_f16_e32 v158, v4, v22
	v_add_f16_e32 v14, v31, v14
	v_fma_f16 v31, v76, s17, -v84
	v_add_f16_e32 v77, v49, v40
	v_mul_f16_e32 v85, 0xb964, v158
	v_add_f16_sdwa v31, v31, v0 dst_sel:DWORD dst_unused:UNUSED_PAD src0_sel:DWORD src1_sel:WORD_1
	v_fma_f16 v32, v77, s8, -v85
	v_mul_f16_e32 v96, 0xb964, v157
	v_add_f16_e32 v31, v32, v31
	v_fma_f16 v32, v76, s8, -v96
	v_mul_f16_e32 v97, 0xbbf7, v158
	v_add_f16_sdwa v32, v32, v0 dst_sel:DWORD dst_unused:UNUSED_PAD src0_sel:DWORD src1_sel:WORD_1
	v_fma_f16 v33, v77, s9, -v97
	v_mul_f16_e32 v114, 0xbb29, v157
	v_add_f16_e32 v32, v33, v32
	v_fma_f16 v33, v76, s10, -v114
	;; [unrolled: 6-line block ×4, first 2 shown]
	v_mul_f16_e32 v137, 0x3836, v158
	v_add_f16_sdwa v35, v35, v0 dst_sel:DWORD dst_unused:UNUSED_PAD src0_sel:DWORD src1_sel:WORD_1
	v_fma_f16 v36, v77, s16, -v137
	v_mul_f16_e32 v145, 0xba62, v68
	v_add_f16_e32 v35, v36, v35
	v_fma_f16 v36, v51, s11, v145
	v_mul_f16_e32 v146, 0x3bb2, v73
	v_add_f16_e32 v36, v36, v0
	v_fma_f16 v37, v52, s15, v146
	v_mul_f16_e32 v153, 0xba62, v157
	v_add_f16_e32 v36, v37, v36
	v_fma_f16 v37, v76, s11, -v153
	v_mul_f16_e32 v154, 0x3bb2, v158
	v_add_f16_sdwa v37, v37, v0 dst_sel:DWORD dst_unused:UNUSED_PAD src0_sel:DWORD src1_sel:WORD_1
	v_fma_f16 v38, v77, s15, -v154
	v_mul_f16_e32 v90, 0xbb29, v78
	v_sub_f16_e32 v166, v5, v21
	v_add_f16_e32 v37, v38, v37
	v_fma_f16 v38, v53, s10, v90
	v_add_f16_e32 v83, v48, v26
	v_mul_f16_e32 v99, 0xbb29, v166
	v_add_f16_e32 v14, v38, v14
	v_fma_f16 v38, v83, s10, -v99
	v_mul_f16_e32 v116, 0xba62, v166
	v_add_f16_e32 v31, v38, v31
	v_fma_f16 v38, v83, s11, -v116
	v_mul_f16_e32 v123, 0x31e1, v166
	v_add_f16_e32 v32, v38, v32
	v_fma_f16 v38, v83, s14, -v123
	v_mul_f16_e32 v133, 0x3bb2, v166
	v_add_f16_e32 v33, v38, v33
	v_fma_f16 v38, v83, s15, -v133
	v_mul_f16_e32 v142, 0x3964, v166
	v_add_f16_e32 v34, v38, v34
	v_fma_f16 v38, v83, s8, -v142
	v_mul_f16_e32 v150, 0xb5c8, v78
	v_add_f16_e32 v35, v38, v35
	v_fma_f16 v38, v53, s17, v150
	v_mul_f16_e32 v160, 0xb5c8, v166
	v_add_f16_e32 v36, v38, v36
	v_fma_f16 v38, v83, s17, -v160
	v_mul_f16_e32 v100, 0xbbf7, v82
	v_sub_f16_e32 v170, v6, v20
	v_add_f16_e32 v37, v38, v37
	v_fma_f16 v38, v55, s9, v100
	v_add_f16_e32 v86, v47, v25
	v_mul_f16_e32 v108, 0xbbf7, v170
	v_add_f16_e32 v14, v38, v14
	v_fma_f16 v38, v86, s9, -v108
	v_mul_f16_e32 v122, 0xb1e1, v170
	v_add_f16_e32 v31, v38, v31
	v_fma_f16 v38, v86, s14, -v122
	v_mul_f16_e32 v130, 0x3bb2, v170
	v_add_f16_e32 v32, v38, v32
	v_fma_f16 v38, v86, s15, -v130
	v_mul_f16_e32 v139, 0x35c8, v170
	v_add_f16_e32 v33, v38, v33
	v_fma_f16 v38, v86, s17, -v139
	v_mul_f16_e32 v148, 0xbb29, v170
	v_add_f16_e32 v34, v38, v34
	v_fma_f16 v38, v86, s10, -v148
	v_mul_f16_e32 v156, 0xb836, v82
	v_add_f16_e32 v35, v38, v35
	v_fma_f16 v38, v55, s16, v156
	v_mul_f16_e32 v164, 0xb836, v170
	v_add_f16_e32 v36, v38, v36
	;; [unrolled: 26-line block ×5, first 2 shown]
	v_fma_f16 v32, v112, s14, -v174
	v_mul_f16_e32 v132, 0xb1e1, v129
	v_sub_f16_e32 v178, v2, v3
	v_add_f16_e32 v37, v32, v37
	v_fma_f16 v32, v67, s14, v132
	v_add_f16_e32 v121, v23, v42
	v_mul_f16_e32 v138, 0xb1e1, v178
	v_add_f16_e32 v32, v32, v14
	v_fma_f16 v14, v121, s14, -v138
	v_mul_f16_e32 v144, 0x35c8, v178
	v_add_f16_e32 v33, v14, v31
	v_fma_f16 v14, v121, s17, -v144
	;; [unrolled: 3-line block ×3, first 2 shown]
	v_add_f16_e32 v35, v14, v161
	v_mul_f16_e32 v161, 0x3964, v178
	v_fma_f16 v14, v121, s8, -v161
	v_add_f16_e32 v36, v14, v167
	v_mul_f16_e32 v167, 0xba62, v178
	v_fma_f16 v14, v121, s11, -v167
	v_mul_f16_e32 v176, 0x3b29, v178
	v_add_f16_e32 v38, v14, v173
	v_fma_f16 v14, v121, s10, -v176
	v_mul_f16_e32 v173, 0x3b29, v129
	v_add_f16_e32 v37, v14, v37
	v_fma_f16 v14, v67, s10, v173
	v_add_f16_e32 v14, v14, v179
	v_mul_lo_u16_e32 v31, 17, v27
	s_barrier
	s_and_saveexec_b64 s[4:5], vcc
	s_cbranch_execz .LBB0_7
; %bb.6:
	v_mul_f16_e32 v190, 0xb8d2, v76
	v_mul_f16_e32 v181, 0x39e9, v51
	;; [unrolled: 1-line block ×3, first 2 shown]
	v_add_f16_e32 v153, v153, v190
	v_mul_f16_e32 v183, 0x3722, v51
	v_mul_f16_e32 v193, 0x2de8, v52
	;; [unrolled: 1-line block ×3, first 2 shown]
	v_add_f16_e32 v154, v154, v202
	v_add_f16_sdwa v153, v153, v0 dst_sel:DWORD dst_unused:UNUSED_PAD src0_sel:DWORD src1_sel:WORD_1
	v_sub_f16_e32 v54, v181, v54
	v_mul_f16_e32 v195, 0xb8d2, v52
	v_mul_f16_e32 v205, 0xb8d2, v53
	;; [unrolled: 1-line block ×3, first 2 shown]
	v_add_f16_e32 v153, v154, v153
	v_add_f16_e32 v160, v160, v214
	v_sub_f16_e32 v58, v183, v58
	v_add_f16_e32 v54, v54, v0
	v_sub_f16_e32 v56, v193, v56
	v_mul_f16_e32 v207, 0xbbdd, v53
	v_mul_f16_e32 v217, 0xbbdd, v55
	;; [unrolled: 1-line block ×4, first 2 shown]
	v_add_f16_e32 v153, v160, v153
	v_add_f16_e32 v164, v164, v226
	;; [unrolled: 1-line block ×3, first 2 shown]
	v_sub_f16_e32 v59, v195, v59
	v_add_f16_e32 v54, v56, v54
	v_sub_f16_e32 v56, v205, v60
	v_mul_f16_e32 v188, 0xb461, v76
	v_mul_f16_e32 v219, 0xb461, v55
	;; [unrolled: 1-line block ×3, first 2 shown]
	v_fma_f16 v235, v76, s14, v234
	v_mul_f16_e32 v236, 0x35c8, v158
	v_add_f16_e32 v153, v164, v153
	v_add_f16_e32 v168, v168, v214
	;; [unrolled: 1-line block ×3, first 2 shown]
	v_sub_f16_e32 v59, v207, v62
	v_add_f16_e32 v54, v56, v54
	v_sub_f16_e32 v56, v217, v63
	v_mul_f16_e32 v200, 0xbacd, v77
	v_mul_f16_e32 v225, 0xbacd, v55
	;; [unrolled: 1-line block ×3, first 2 shown]
	v_add_f16_sdwa v235, v235, v0 dst_sel:DWORD dst_unused:UNUSED_PAD src0_sel:DWORD src1_sel:WORD_1
	v_fma_f16 v237, v77, s17, v236
	v_mul_f16_e32 v164, 0xb461, v61
	v_add_f16_e32 v153, v168, v153
	v_mul_f16_e32 v168, 0x39e9, v102
	v_add_f16_e32 v136, v136, v188
	v_add_f16_e32 v58, v59, v58
	v_sub_f16_e32 v59, v219, v65
	v_add_f16_e32 v54, v56, v54
	v_sub_f16_e32 v56, v229, v66
	v_mul_f16_e32 v212, 0x39e9, v83
	v_add_f16_e32 v235, v237, v235
	v_mul_f16_e32 v237, 0xb836, v166
	v_mul_f16_e32 v154, 0x2de8, v57
	v_add_f16_e32 v168, v171, v168
	v_mul_f16_e32 v171, 0x3b76, v61
	v_sub_f16_e32 v156, v225, v156
	v_mul_f16_e32 v225, 0x3722, v64
	v_add_f16_e32 v137, v137, v200
	v_add_f16_sdwa v136, v136, v0 dst_sel:DWORD dst_unused:UNUSED_PAD src0_sel:DWORD src1_sel:WORD_1
	v_add_f16_e32 v58, v59, v58
	v_sub_f16_e32 v59, v231, v69
	v_add_f16_e32 v54, v56, v54
	v_sub_f16_e32 v56, v164, v70
	v_fma_f16 v238, v83, s16, v237
	v_sub_f16_e32 v154, v154, v162
	v_mul_f16_e32 v162, 0x2de8, v64
	v_add_f16_e32 v136, v137, v136
	v_mul_f16_e32 v137, 0x3b76, v67
	v_add_f16_e32 v142, v142, v212
	v_add_f16_e32 v58, v59, v58
	v_sub_f16_e32 v59, v171, v71
	v_add_f16_e32 v54, v56, v54
	v_sub_f16_e32 v56, v225, v72
	v_mul_f16_e32 v180, 0x3b76, v76
	v_add_f16_e32 v235, v238, v235
	v_mul_f16_e32 v238, 0x3964, v170
	v_add_f16_e32 v136, v142, v136
	;; [unrolled: 2-line block ×3, first 2 shown]
	v_sub_f16_e32 v59, v162, v74
	v_add_f16_e32 v54, v56, v54
	v_sub_f16_e32 v56, v137, v75
	v_mul_f16_e32 v182, 0x39e9, v76
	v_mul_f16_e32 v192, 0x39e9, v77
	v_fma_f16 v239, v86, s8, v238
	v_add_f16_e32 v58, v59, v58
	v_sub_f16_e32 v59, v142, v79
	v_add_f16_e32 v54, v56, v54
	v_add_f16_e32 v56, v84, v180
	v_mul_f16_e32 v189, 0xb8d2, v51
	v_mul_f16_e32 v194, 0x2de8, v77
	;; [unrolled: 1-line block ×3, first 2 shown]
	v_add_f16_e32 v235, v239, v235
	v_mul_f16_e32 v239, 0xba62, v172
	v_add_f16_e32 v58, v59, v58
	v_add_f16_e32 v59, v96, v182
	v_add_f16_sdwa v56, v56, v0 dst_sel:DWORD dst_unused:UNUSED_PAD src0_sel:DWORD src1_sel:WORD_1
	v_add_f16_e32 v60, v85, v192
	v_mul_f16_e32 v201, 0xb461, v52
	v_mul_f16_e32 v206, 0xb8d2, v83
	v_mul_f16_e32 v216, 0x2de8, v86
	v_fma_f16 v240, v92, s11, v239
	v_sub_f16_e32 v145, v189, v145
	v_add_f16_sdwa v59, v59, v0 dst_sel:DWORD dst_unused:UNUSED_PAD src0_sel:DWORD src1_sel:WORD_1
	v_add_f16_e32 v62, v97, v194
	v_add_f16_e32 v56, v60, v56
	;; [unrolled: 1-line block ×3, first 2 shown]
	v_mul_f16_e32 v213, 0x3b76, v53
	v_mul_f16_e32 v218, 0xbbdd, v86
	;; [unrolled: 1-line block ×3, first 2 shown]
	v_add_f16_e32 v235, v240, v235
	v_mul_f16_e32 v240, 0x3b29, v175
	v_sub_f16_e32 v146, v201, v146
	v_add_f16_e32 v145, v145, v0
	v_add_f16_e32 v59, v62, v59
	;; [unrolled: 1-line block ×5, first 2 shown]
	v_mul_f16_e32 v230, 0xbacd, v92
	v_fma_f16 v241, v102, s10, v240
	v_mul_f16_e32 v226, 0xb8d2, v102
	v_add_f16_e32 v145, v146, v145
	v_sub_f16_e32 v150, v213, v150
	v_add_f16_e32 v59, v62, v59
	v_add_f16_e32 v62, v122, v218
	;; [unrolled: 1-line block ×5, first 2 shown]
	v_mul_f16_e32 v241, 0xbbb2, v177
	v_mul_f16_e32 v214, 0xb461, v102
	v_add_f16_e32 v145, v150, v145
	v_mul_f16_e32 v150, 0xbacd, v112
	v_add_f16_e32 v59, v62, v59
	v_add_f16_e32 v62, v128, v230
	;; [unrolled: 1-line block ×4, first 2 shown]
	v_fma_f16 v242, v112, s15, v241
	v_add_f16_e32 v145, v156, v145
	v_mul_f16_e32 v156, 0x3722, v112
	v_mul_f16_e32 v200, 0xbbdd, v121
	v_add_f16_e32 v59, v62, v59
	v_add_f16_e32 v62, v134, v214
	;; [unrolled: 1-line block ×4, first 2 shown]
	v_mul_f16_e32 v179, 0x3b76, v51
	v_add_f16_e32 v235, v242, v235
	v_mul_f16_e32 v242, 0x3bf7, v178
	v_mul_f16_e32 v212, 0x3b76, v121
	v_add_f16_e32 v59, v62, v59
	v_add_f16_e32 v62, v140, v156
	;; [unrolled: 1-line block ×4, first 2 shown]
	v_mul_f16_e32 v191, 0x39e9, v52
	v_fma_f16 v243, v121, s9, v242
	v_add_f16_e32 v59, v62, v59
	v_add_f16_e32 v62, v144, v212
	;; [unrolled: 1-line block ×3, first 2 shown]
	v_sub_f16_e32 v60, v179, v80
	v_mul_f16_e32 v203, 0x3722, v53
	v_add_f16_e32 v235, v243, v235
	v_mul_f16_e32 v243, 0xb1e1, v68
	v_add_f16_e32 v59, v62, v59
	v_add_f16_e32 v60, v60, v0
	v_sub_f16_e32 v62, v191, v81
	v_mul_f16_e32 v215, 0x2de8, v55
	v_fma_f16 v244, v51, s14, -v243
	v_mul_f16_e32 v245, 0x35c8, v73
	v_add_f16_e32 v60, v62, v60
	v_sub_f16_e32 v62, v203, v90
	v_mul_f16_e32 v227, 0xb461, v57
	v_add_f16_e32 v244, v244, v0
	v_fma_f16 v246, v52, s17, -v245
	v_add_f16_e32 v60, v62, v60
	v_sub_f16_e32 v62, v215, v100
	v_add_f16_e32 v244, v246, v244
	v_mul_f16_e32 v246, 0xb836, v78
	v_mul_f16_e32 v160, 0xb8d2, v61
	v_add_f16_e32 v60, v62, v60
	v_sub_f16_e32 v62, v227, v110
	v_fma_f16 v247, v53, s16, -v246
	v_mul_f16_e32 v213, 0xbacd, v64
	v_add_f16_e32 v60, v62, v60
	v_sub_f16_e32 v62, v160, v120
	v_add_f16_e32 v244, v247, v244
	v_mul_f16_e32 v247, 0x3964, v82
	v_mul_f16_e32 v188, 0xbbdd, v67
	v_add_f16_e32 v60, v62, v60
	v_sub_f16_e32 v62, v213, v127
	v_fma_f16 v248, v55, s8, -v247
	v_add_f16_e32 v60, v62, v60
	v_sub_f16_e32 v62, v188, v132
	v_add_f16_e32 v244, v248, v244
	v_mul_f16_e32 v248, 0xba62, v87
	v_add_f16_e32 v60, v62, v60
	v_fma_f16 v62, v76, s14, -v234
	v_fma_f16 v249, v57, s11, -v248
	v_add_f16_sdwa v62, v62, v0 dst_sel:DWORD dst_unused:UNUSED_PAD src0_sel:DWORD src1_sel:WORD_1
	v_fma_f16 v63, v77, s17, -v236
	v_add_f16_e32 v244, v249, v244
	v_mul_f16_e32 v249, 0x3b29, v103
	v_add_f16_e32 v62, v63, v62
	v_fma_f16 v63, v83, s16, -v237
	v_fma_f16 v250, v61, s10, -v249
	v_add_f16_e32 v62, v63, v62
	v_fma_f16 v63, v86, s8, -v238
	v_add_f16_e32 v244, v250, v244
	v_mul_f16_e32 v250, 0xbbb2, v118
	v_add_f16_e32 v62, v63, v62
	v_fma_f16 v63, v92, s11, -v239
	v_fma_f16 v251, v64, s15, -v250
	v_add_f16_e32 v62, v63, v62
	v_fma_f16 v63, v102, s10, -v240
	v_add_f16_e32 v244, v251, v244
	v_mul_f16_e32 v251, 0x3bf7, v129
	v_add_f16_e32 v62, v63, v62
	v_fma_f16 v63, v112, s15, -v241
	v_mul_f16_e32 v185, 0x2de8, v51
	v_mul_f16_e32 v187, 0xb461, v51
	v_fma_f16 v252, v67, s9, -v251
	v_mul_f16_e32 v157, 0xb836, v157
	v_add_f16_e32 v62, v63, v62
	v_fma_f16 v63, v121, s9, -v242
	v_mul_f16_e32 v197, 0xbbdd, v52
	v_mul_f16_e32 v199, 0xbacd, v52
	v_add_f16_e32 v244, v252, v244
	v_fma_f16 v252, v76, s16, v157
	v_mul_f16_e32 v158, 0x3b29, v158
	v_mul_f16_e32 v146, 0x39e9, v61
	v_sub_f16_e32 v104, v187, v104
	v_sub_f16_e32 v88, v185, v88
	v_add_f16_e32 v62, v63, v62
	v_fma_f16 v63, v51, s14, v243
	v_mul_f16_e32 v209, 0xb461, v53
	v_mul_f16_e32 v211, 0x39e9, v53
	v_add_f16_sdwa v252, v252, v0 dst_sel:DWORD dst_unused:UNUSED_PAD src0_sel:DWORD src1_sel:WORD_1
	v_fma_f16 v253, v77, s10, v158
	v_mul_f16_e32 v166, 0xbbf7, v166
	v_add_f16_e32 v153, v168, v153
	v_mul_f16_e32 v168, 0xbbdd, v112
	v_add_f16_e32 v145, v154, v145
	v_sub_f16_e32 v146, v146, v165
	v_add_f16_e32 v104, v104, v0
	v_sub_f16_e32 v105, v199, v105
	;; [unrolled: 2-line block ×3, first 2 shown]
	v_add_f16_e32 v63, v63, v0
	v_fma_f16 v65, v52, s17, v245
	v_mul_f16_e32 v221, 0x3b76, v55
	v_mul_f16_e32 v223, 0x3722, v55
	v_add_f16_e32 v252, v253, v252
	v_fma_f16 v253, v83, s9, v166
	v_mul_f16_e32 v170, 0x3a62, v170
	v_add_f16_e32 v168, v174, v168
	v_add_f16_e32 v145, v146, v145
	v_mul_f16_e32 v146, 0xbbdd, v64
	v_add_f16_e32 v104, v105, v104
	v_sub_f16_e32 v105, v211, v106
	v_add_f16_e32 v88, v89, v88
	v_sub_f16_e32 v89, v209, v91
	v_add_f16_e32 v63, v65, v63
	v_fma_f16 v65, v53, s16, v246
	v_mul_f16_e32 v224, 0x3722, v86
	v_mul_f16_e32 v233, 0x3722, v57
	v_add_f16_e32 v252, v253, v252
	v_fma_f16 v253, v86, s11, v170
	v_mul_f16_e32 v172, 0xb5c8, v172
	v_mul_f16_e32 v190, 0xbbdd, v57
	v_add_f16_e32 v153, v168, v153
	v_mul_f16_e32 v168, 0x3722, v121
	v_sub_f16_e32 v146, v146, v169
	v_add_f16_e32 v104, v105, v104
	v_sub_f16_e32 v105, v223, v107
	v_add_f16_e32 v88, v89, v88
	;; [unrolled: 2-line block ×3, first 2 shown]
	v_fma_f16 v65, v55, s8, v247
	v_add_f16_e32 v252, v253, v252
	v_fma_f16 v253, v92, s17, v172
	v_mul_f16_e32 v175, 0xb1e1, v175
	v_mul_f16_e32 v202, 0xbbdd, v92
	v_add_f16_e32 v168, v176, v168
	v_mul_f16_e32 v176, 0xbacd, v61
	v_mul_f16_e32 v189, 0x2de8, v61
	v_add_f16_e32 v145, v146, v145
	v_mul_f16_e32 v146, 0x3722, v67
	v_add_f16_e32 v148, v148, v224
	v_add_f16_e32 v104, v105, v104
	v_sub_f16_e32 v105, v190, v109
	v_add_f16_e32 v88, v89, v88
	v_sub_f16_e32 v89, v233, v94
	v_add_f16_e32 v63, v65, v63
	v_fma_f16 v65, v57, s11, v248
	v_add_f16_e32 v252, v253, v252
	v_fma_f16 v253, v102, s14, v175
	v_mul_f16_e32 v177, 0x3964, v177
	v_mul_f16_e32 v165, 0xb8d2, v64
	v_sub_f16_e32 v146, v146, v173
	v_mul_f16_e32 v173, 0x3b76, v64
	v_add_f16_e32 v136, v148, v136
	v_add_f16_e32 v152, v152, v202
	;; [unrolled: 1-line block ×3, first 2 shown]
	v_sub_f16_e32 v105, v189, v111
	v_add_f16_e32 v88, v89, v88
	v_sub_f16_e32 v89, v176, v95
	v_add_f16_e32 v63, v65, v63
	v_fma_f16 v65, v61, s10, v249
	v_add_f16_e32 v252, v253, v252
	v_fma_f16 v253, v112, s8, v177
	v_mul_f16_e32 v178, 0xbbb2, v178
	v_mul_f16_e32 v148, 0x39e9, v67
	v_add_f16_e32 v136, v152, v136
	v_mul_f16_e32 v152, 0xb8d2, v67
	v_add_f16_e32 v104, v105, v104
	v_sub_f16_e32 v105, v173, v113
	v_add_f16_e32 v88, v89, v88
	v_sub_f16_e32 v89, v165, v98
	v_add_f16_e32 v63, v65, v63
	v_fma_f16 v65, v64, s15, v250
	v_mul_f16_e32 v184, 0x3722, v76
	v_mul_f16_e32 v186, 0x2de8, v76
	v_add_f16_e32 v252, v253, v252
	v_fma_f16 v253, v121, s15, v178
	v_mul_f16_e32 v68, 0xb836, v68
	v_add_f16_e32 v104, v105, v104
	v_sub_f16_e32 v105, v152, v117
	v_add_f16_e32 v88, v89, v88
	v_sub_f16_e32 v89, v148, v101
	v_add_f16_e32 v63, v65, v63
	v_fma_f16 v65, v67, s9, v251
	v_add_f16_e32 v252, v253, v252
	v_fma_f16 v253, v51, s16, -v68
	v_add_f16_e32 v104, v105, v104
	v_add_f16_e32 v105, v124, v186
	v_add_f16_e32 v88, v89, v88
	v_add_f16_e32 v89, v114, v184
	v_add_f16_e32 v63, v65, v63
	v_fma_f16 v65, v76, s16, -v157
	v_fma_f16 v51, v51, s16, v68
	v_add_f16_e32 v253, v253, v0
	v_add_f16_sdwa v105, v105, v0 dst_sel:DWORD dst_unused:UNUSED_PAD src0_sel:DWORD src1_sel:WORD_1
	v_add_f16_sdwa v89, v89, v0 dst_sel:DWORD dst_unused:UNUSED_PAD src0_sel:DWORD src1_sel:WORD_1
	;; [unrolled: 1-line block ×3, first 2 shown]
	v_add_f16_e32 v51, v51, v0
	v_add_f16_sdwa v43, v43, v0 dst_sel:DWORD dst_unused:UNUSED_PAD src0_sel:DWORD src1_sel:WORD_1
	v_add_f16_e32 v0, v1, v0
	v_add_f16_e32 v40, v40, v43
	;; [unrolled: 1-line block ×7, first 2 shown]
	v_mul_f16_e32 v73, 0x3b29, v73
	v_add_f16_e32 v25, v41, v25
	v_add_f16_e32 v0, v7, v0
	v_fma_f16 v254, v52, s10, -v73
	v_mul_f16_e32 v78, 0xbbf7, v78
	v_add_f16_e32 v25, v39, v25
	v_add_f16_e32 v0, v15, v0
	v_add_f16_e32 v253, v254, v253
	v_fma_f16 v254, v53, s9, -v78
	v_mul_f16_e32 v82, 0x3a62, v82
	v_add_f16_e32 v25, v45, v25
	;; [unrolled: 5-line block ×4, first 2 shown]
	v_add_f16_e32 v0, v3, v0
	v_mul_f16_e32 v196, 0xb8d2, v77
	v_mul_f16_e32 v198, 0xbbdd, v77
	v_add_f16_e32 v253, v254, v253
	v_fma_f16 v254, v61, s14, -v103
	v_mul_f16_e32 v118, 0x3964, v118
	v_add_f16_e32 v23, v24, v23
	v_add_f16_e32 v0, v17, v0
	v_mul_f16_e32 v208, 0xbbdd, v83
	v_mul_f16_e32 v210, 0xb461, v83
	v_add_f16_e32 v253, v254, v253
	v_fma_f16 v254, v64, s8, -v118
	v_mul_f16_e32 v129, 0xbbb2, v129
	v_add_f16_e32 v106, v125, v198
	v_add_f16_e32 v91, v115, v196
	;; [unrolled: 1-line block ×4, first 2 shown]
	v_mul_f16_e32 v220, 0xb461, v86
	v_mul_f16_e32 v222, 0x3b76, v86
	v_add_f16_e32 v253, v254, v253
	v_fma_f16 v254, v67, s15, -v129
	v_add_f16_e32 v105, v106, v105
	v_add_f16_e32 v106, v133, v210
	;; [unrolled: 1-line block ×6, first 2 shown]
	v_mul_f16_e32 v232, 0x39e9, v92
	v_add_f16_e32 v253, v254, v253
	v_mul_f16_e32 v254, 0x3722, v92
	v_add_f16_e32 v105, v106, v105
	v_add_f16_e32 v106, v139, v222
	;; [unrolled: 1-line block ×6, first 2 shown]
	v_mul_f16_e32 v174, 0x3b76, v102
	v_add_f16_e32 v153, v168, v153
	v_mul_f16_e32 v168, 0xbacd, v102
	v_add_f16_e32 v105, v106, v105
	v_add_f16_e32 v106, v143, v254
	;; [unrolled: 1-line block ×4, first 2 shown]
	v_fma_f16 v66, v77, s10, -v158
	v_fma_f16 v52, v52, s10, v73
	v_add_f16_e32 v23, v48, v23
	v_add_f16_e32 v0, v21, v0
	v_mul_f16_e32 v201, 0x2de8, v102
	v_mul_f16_e32 v154, 0x2de8, v112
	;; [unrolled: 1-line block ×3, first 2 shown]
	v_add_f16_e32 v105, v106, v105
	v_add_f16_e32 v106, v149, v168
	v_add_f16_e32 v89, v91, v89
	v_add_f16_e32 v91, v141, v174
	v_add_f16_e32 v65, v66, v65
	v_fma_f16 v66, v83, s9, -v166
	v_add_f16_e32 v51, v52, v51
	v_fma_f16 v52, v53, s9, v78
	v_add_f16_e32 v23, v49, v23
	v_add_f16_e32 v0, v22, v0
	;; [unrolled: 1-line block ×3, first 2 shown]
	v_mul_f16_e32 v146, 0x3b76, v112
	v_mul_f16_e32 v224, 0xbacd, v121
	;; [unrolled: 1-line block ×3, first 2 shown]
	v_add_f16_e32 v159, v159, v201
	v_add_f16_e32 v105, v106, v105
	v_add_f16_e32 v106, v155, v169
	v_add_f16_e32 v89, v91, v89
	v_add_f16_e32 v91, v147, v154
	v_add_f16_e32 v65, v66, v65
	v_fma_f16 v66, v86, s11, -v170
	v_add_f16_e32 v51, v52, v51
	v_fma_f16 v52, v55, s11, v82
	v_add_f16_sdwa v23, v50, v23 dst_sel:WORD_1 dst_unused:UNUSED_PAD src0_sel:DWORD src1_sel:DWORD
	v_add_f16_e32 v0, v29, v0
	v_mul_f16_e32 v201, 0xb8d2, v121
	v_add_f16_e32 v136, v159, v136
	v_add_f16_e32 v146, v163, v146
	;; [unrolled: 1-line block ×7, first 2 shown]
	v_fma_f16 v66, v92, s17, -v172
	v_add_f16_e32 v51, v52, v51
	v_fma_f16 v52, v57, s17, v87
	v_or_b32_e32 v0, v23, v0
	v_add_lshl_u32 v1, v13, v31, 2
	v_add_f16_e32 v136, v146, v136
	v_add_f16_e32 v146, v167, v201
	;; [unrolled: 1-line block ×5, first 2 shown]
	v_fma_f16 v66, v102, s14, -v175
	v_add_f16_e32 v51, v52, v51
	v_fma_f16 v52, v61, s14, v103
	ds_write_b32 v1, v0
	v_pack_b32_f16 v0, v54, v59
	v_pack_b32_f16 v2, v60, v56
	v_add_f16_e32 v136, v146, v136
	v_add_f16_e32 v65, v66, v65
	v_fma_f16 v66, v112, s8, -v177
	v_add_f16_e32 v51, v52, v51
	v_fma_f16 v52, v64, s8, v118
	ds_write2_b32 v1, v2, v0 offset0:1 offset1:2
	v_pack_b32_f16 v0, v88, v105
	v_pack_b32_f16 v2, v58, v89
	v_add_f16_e32 v65, v66, v65
	v_fma_f16 v66, v121, s15, -v178
	v_add_f16_e32 v51, v52, v51
	v_fma_f16 v52, v67, s15, v129
	ds_write2_b32 v1, v2, v0 offset0:3 offset1:4
	v_pack_b32_f16 v0, v145, v153
	v_pack_b32_f16 v2, v104, v136
	v_add_f16_e32 v65, v66, v65
	v_add_f16_e32 v51, v52, v51
	ds_write2_b32 v1, v2, v0 offset0:5 offset1:6
	v_pack_b32_f16 v0, v244, v235
	v_pack_b32_f16 v2, v253, v252
	ds_write2_b32 v1, v2, v0 offset0:7 offset1:8
	v_pack_b32_f16 v0, v51, v65
	v_pack_b32_f16 v2, v63, v62
	s_mov_b32 s8, 0x5040100
	ds_write2_b32 v1, v2, v0 offset0:9 offset1:10
	v_perm_b32 v0, v38, v11, s8
	v_perm_b32 v2, v37, v14, s8
	ds_write2_b32 v1, v2, v0 offset0:11 offset1:12
	v_perm_b32 v0, v35, v9, s8
	v_perm_b32 v2, v36, v12, s8
	;; [unrolled: 3-line block ×3, first 2 shown]
	ds_write2_b32 v1, v2, v0 offset0:15 offset1:16
.LBB0_7:
	s_or_b64 exec, exec, s[4:5]
	v_mul_u32_u24_e32 v0, 10, v27
	v_lshlrev_b32_e32 v17, 2, v0
	s_load_dwordx4 s[8:11], s[2:3], 0x0
	s_waitcnt lgkmcnt(0)
	s_barrier
	global_load_dwordx4 v[0:3], v17, s[0:1]
	global_load_dwordx4 v[4:7], v17, s[0:1] offset:16
	global_load_dwordx2 v[15:16], v17, s[0:1] offset:32
	v_add_lshl_u32 v39, v13, v27, 2
	ds_read2_b32 v[18:19], v39 offset1:17
	ds_read2_b32 v[20:21], v39 offset0:34 offset1:51
	ds_read2_b32 v[22:23], v39 offset0:68 offset1:85
	;; [unrolled: 1-line block ×4, first 2 shown]
	ds_read_b32 v13, v39 offset:680
	s_waitcnt lgkmcnt(5)
	v_lshrrev_b32_e32 v17, 16, v19
	s_waitcnt lgkmcnt(4)
	v_lshrrev_b32_e32 v26, 16, v20
	v_lshrrev_b32_e32 v29, 16, v21
	s_waitcnt lgkmcnt(3)
	v_lshrrev_b32_e32 v42, 16, v22
	s_waitcnt lgkmcnt(0)
	v_lshrrev_b32_e32 v48, 16, v13
	v_lshrrev_b32_e32 v43, 16, v23
	;; [unrolled: 1-line block ×6, first 2 shown]
	s_movk_i32 s0, 0x3abb
	s_movk_i32 s1, 0x36a6
	s_mov_b32 s2, 0xb08e
	s_mov_b32 s3, 0xb93d
	;; [unrolled: 1-line block ×3, first 2 shown]
	s_waitcnt vmcnt(2)
	v_mul_f16_sdwa v49, v17, v0 dst_sel:DWORD dst_unused:UNUSED_PAD src0_sel:DWORD src1_sel:WORD_1
	v_mul_f16_sdwa v50, v19, v0 dst_sel:DWORD dst_unused:UNUSED_PAD src0_sel:DWORD src1_sel:WORD_1
	;; [unrolled: 1-line block ×4, first 2 shown]
	s_waitcnt vmcnt(0)
	v_mul_f16_sdwa v68, v13, v16 dst_sel:DWORD dst_unused:UNUSED_PAD src0_sel:DWORD src1_sel:WORD_1
	v_fma_f16 v19, v19, v0, -v49
	v_fma_f16 v17, v17, v0, v50
	v_mul_f16_sdwa v53, v29, v2 dst_sel:DWORD dst_unused:UNUSED_PAD src0_sel:DWORD src1_sel:WORD_1
	v_mul_f16_sdwa v54, v21, v2 dst_sel:DWORD dst_unused:UNUSED_PAD src0_sel:DWORD src1_sel:WORD_1
	v_mul_f16_sdwa v67, v48, v16 dst_sel:DWORD dst_unused:UNUSED_PAD src0_sel:DWORD src1_sel:WORD_1
	v_fma_f16 v20, v20, v1, -v51
	v_fma_f16 v26, v26, v1, v52
	v_fma_f16 v48, v48, v16, v68
	v_add_f16_e32 v49, v19, v18
	v_add_f16_sdwa v50, v17, v18 dst_sel:DWORD dst_unused:UNUSED_PAD src0_sel:DWORD src1_sel:WORD_1
	v_mul_f16_sdwa v55, v42, v3 dst_sel:DWORD dst_unused:UNUSED_PAD src0_sel:DWORD src1_sel:WORD_1
	v_mul_f16_sdwa v56, v22, v3 dst_sel:DWORD dst_unused:UNUSED_PAD src0_sel:DWORD src1_sel:WORD_1
	v_fma_f16 v21, v21, v2, -v53
	v_fma_f16 v29, v29, v2, v54
	v_add_f16_e32 v52, v17, v48
	v_sub_f16_e32 v53, v17, v48
	v_add_f16_e32 v17, v49, v20
	v_add_f16_e32 v49, v50, v26
	v_mul_f16_sdwa v57, v43, v4 dst_sel:DWORD dst_unused:UNUSED_PAD src0_sel:DWORD src1_sel:WORD_1
	v_mul_f16_sdwa v58, v23, v4 dst_sel:DWORD dst_unused:UNUSED_PAD src0_sel:DWORD src1_sel:WORD_1
	v_fma_f16 v22, v22, v3, -v55
	v_fma_f16 v42, v42, v3, v56
	v_add_f16_e32 v17, v17, v21
	v_add_f16_e32 v49, v49, v29
	v_mul_f16_sdwa v59, v44, v5 dst_sel:DWORD dst_unused:UNUSED_PAD src0_sel:DWORD src1_sel:WORD_1
	v_mul_f16_sdwa v60, v24, v5 dst_sel:DWORD dst_unused:UNUSED_PAD src0_sel:DWORD src1_sel:WORD_1
	v_fma_f16 v23, v23, v4, -v57
	v_fma_f16 v43, v43, v4, v58
	;; [unrolled: 6-line block ×5, first 2 shown]
	v_add_f16_e32 v17, v17, v25
	v_add_f16_e32 v49, v49, v45
	v_fma_f16 v41, v41, v15, -v65
	v_fma_f16 v47, v47, v15, v66
	v_add_f16_e32 v17, v17, v40
	v_add_f16_e32 v49, v49, v46
	v_fma_f16 v13, v13, v16, -v67
	v_add_f16_e32 v17, v17, v41
	v_add_f16_e32 v49, v49, v47
	;; [unrolled: 1-line block ×3, first 2 shown]
	v_sub_f16_e32 v19, v19, v13
	v_mul_f16_e32 v50, 0xb853, v53
	v_add_f16_e32 v13, v17, v13
	v_add_f16_sdwa v17, v49, v48 dst_sel:WORD_1 dst_unused:UNUSED_PAD src0_sel:DWORD src1_sel:DWORD
	v_fma_f16 v54, v51, s0, -v50
	v_or_b32_e32 v17, v17, v13
	v_mul_f16_e32 v13, 0xb853, v19
	v_fma_f16 v49, v51, s0, v50
	v_mul_f16_e32 v50, 0xbb47, v53
	v_mul_f16_e32 v56, 0xbb47, v19
	;; [unrolled: 1-line block ×8, first 2 shown]
	v_fma_f16 v48, v52, s0, v13
	v_fma_f16 v13, v52, s0, -v13
	v_fma_f16 v55, v51, s1, -v50
	v_fma_f16 v57, v52, s1, v56
	v_fma_f16 v50, v51, s1, v50
	v_fma_f16 v56, v52, s1, -v56
	v_fma_f16 v59, v51, s2, -v58
	v_fma_f16 v61, v52, s2, v60
	;; [unrolled: 4-line block ×4, first 2 shown]
	v_fma_f16 v51, v51, s4, v53
	v_fma_f16 v19, v52, s4, -v19
	v_add_f16_e32 v52, v26, v47
	v_sub_f16_e32 v26, v26, v47
	v_add_f16_e32 v54, v54, v18
	v_add_f16_sdwa v48, v48, v18 dst_sel:DWORD dst_unused:UNUSED_PAD src0_sel:DWORD src1_sel:WORD_1
	v_add_f16_e32 v49, v49, v18
	v_add_f16_sdwa v13, v13, v18 dst_sel:DWORD dst_unused:UNUSED_PAD src0_sel:DWORD src1_sel:WORD_1
	;; [unrolled: 2-line block ×10, first 2 shown]
	v_add_f16_e32 v19, v20, v41
	v_sub_f16_e32 v20, v20, v41
	v_mul_f16_e32 v41, 0xbb47, v26
	v_fma_f16 v47, v19, s1, -v41
	v_mul_f16_e32 v53, 0xbb47, v20
	v_fma_f16 v41, v19, s1, v41
	v_add_f16_e32 v41, v41, v49
	v_fma_f16 v49, v52, s1, -v53
	v_add_f16_e32 v47, v47, v54
	v_fma_f16 v54, v52, s1, v53
	v_add_f16_e32 v13, v49, v13
	v_mul_f16_e32 v49, 0xba0c, v26
	v_add_f16_e32 v48, v54, v48
	v_fma_f16 v53, v19, s3, -v49
	v_mul_f16_e32 v54, 0xba0c, v20
	v_fma_f16 v49, v19, s3, v49
	v_add_f16_e32 v53, v53, v55
	v_fma_f16 v55, v52, s3, v54
	v_add_f16_e32 v49, v49, v50
	v_fma_f16 v50, v52, s3, -v54
	v_mul_f16_e32 v54, 0x3482, v26
	v_add_f16_e32 v55, v55, v57
	v_add_f16_e32 v50, v50, v56
	v_fma_f16 v56, v19, s4, -v54
	v_mul_f16_e32 v57, 0x3482, v20
	v_fma_f16 v54, v19, s4, v54
	v_add_f16_e32 v56, v56, v59
	v_fma_f16 v59, v52, s4, v57
	v_add_f16_e32 v54, v54, v58
	v_fma_f16 v57, v52, s4, -v57
	v_mul_f16_e32 v58, 0x3beb, v26
	v_add_f16_e32 v59, v59, v61
	v_add_f16_e32 v57, v57, v60
	v_fma_f16 v60, v19, s2, -v58
	v_mul_f16_e32 v61, 0x3beb, v20
	v_add_f16_e32 v60, v60, v63
	v_fma_f16 v63, v52, s2, v61
	v_fma_f16 v58, v19, s2, v58
	v_fma_f16 v61, v52, s2, -v61
	v_mul_f16_e32 v26, 0x3853, v26
	v_mul_f16_e32 v20, 0x3853, v20
	v_add_f16_e32 v58, v58, v62
	v_add_f16_e32 v61, v61, v64
	v_fma_f16 v62, v19, s0, -v26
	v_fma_f16 v64, v52, s0, v20
	v_fma_f16 v19, v19, s0, v26
	v_fma_f16 v20, v52, s0, -v20
	v_add_f16_e32 v26, v29, v46
	v_sub_f16_e32 v29, v29, v46
	v_add_f16_e32 v18, v20, v18
	v_add_f16_e32 v20, v21, v40
	v_sub_f16_e32 v21, v21, v40
	v_mul_f16_e32 v40, 0xbbeb, v29
	v_fma_f16 v46, v20, s2, -v40
	v_add_f16_e32 v46, v46, v47
	v_mul_f16_e32 v47, 0xbbeb, v21
	v_fma_f16 v40, v20, s2, v40
	v_add_f16_e32 v40, v40, v41
	v_fma_f16 v41, v26, s2, -v47
	v_add_f16_e32 v19, v19, v51
	v_fma_f16 v51, v26, s2, v47
	v_add_f16_e32 v13, v41, v13
	v_mul_f16_e32 v41, 0x3482, v29
	v_add_f16_e32 v48, v51, v48
	v_fma_f16 v47, v20, s4, -v41
	v_mul_f16_e32 v51, 0x3482, v21
	v_fma_f16 v41, v20, s4, v41
	v_add_f16_e32 v41, v41, v49
	v_fma_f16 v49, v26, s4, -v51
	v_add_f16_e32 v49, v49, v50
	v_mul_f16_e32 v50, 0x3b47, v29
	v_fma_f16 v52, v26, s4, v51
	v_fma_f16 v51, v20, s1, -v50
	v_fma_f16 v50, v20, s1, v50
	v_add_f16_e32 v47, v47, v53
	v_mul_f16_e32 v53, 0x3b47, v21
	v_add_f16_e32 v50, v50, v54
	v_mul_f16_e32 v54, 0xb853, v29
	v_add_f16_e32 v52, v52, v55
	v_add_f16_e32 v51, v51, v56
	v_fma_f16 v55, v26, s1, v53
	v_fma_f16 v53, v26, s1, -v53
	v_fma_f16 v56, v20, s0, -v54
	v_fma_f16 v54, v20, s0, v54
	v_mul_f16_e32 v29, 0xba0c, v29
	v_add_f16_e32 v53, v53, v57
	v_mul_f16_e32 v57, 0xb853, v21
	v_add_f16_e32 v54, v54, v58
	v_fma_f16 v58, v20, s3, -v29
	v_mul_f16_e32 v21, 0xba0c, v21
	v_fma_f16 v20, v20, s3, v29
	v_add_f16_e32 v19, v20, v19
	v_fma_f16 v20, v26, s3, -v21
	v_add_f16_e32 v18, v20, v18
	v_add_f16_e32 v20, v22, v25
	v_sub_f16_e32 v22, v22, v25
	v_sub_f16_e32 v25, v42, v45
	v_add_f16_e32 v55, v55, v59
	v_add_f16_e32 v56, v56, v60
	v_fma_f16 v59, v26, s0, v57
	v_fma_f16 v57, v26, s0, -v57
	v_fma_f16 v60, v26, s3, v21
	v_mul_f16_e32 v26, 0xba0c, v25
	v_add_f16_e32 v21, v42, v45
	v_fma_f16 v29, v20, s3, -v26
	v_mul_f16_e32 v42, 0xba0c, v22
	v_fma_f16 v26, v20, s3, v26
	v_add_f16_e32 v26, v26, v40
	v_fma_f16 v40, v21, s3, -v42
	v_fma_f16 v45, v21, s3, v42
	v_add_f16_e32 v42, v40, v13
	v_mul_f16_e32 v13, 0x3beb, v25
	v_fma_f16 v40, v20, s2, -v13
	v_add_f16_e32 v29, v29, v46
	v_add_f16_e32 v46, v40, v47
	v_mul_f16_e32 v40, 0x3beb, v22
	v_fma_f16 v13, v20, s2, v13
	v_add_f16_e32 v45, v45, v48
	v_add_f16_e32 v48, v13, v41
	v_fma_f16 v13, v21, s2, -v40
	v_add_f16_e32 v49, v13, v49
	v_mul_f16_e32 v13, 0xb853, v25
	v_fma_f16 v47, v21, s2, v40
	v_fma_f16 v40, v20, s0, -v13
	v_add_f16_e32 v51, v40, v51
	v_mul_f16_e32 v40, 0xb853, v22
	v_fma_f16 v13, v20, s0, v13
	v_add_f16_e32 v50, v13, v50
	v_fma_f16 v13, v21, s0, -v40
	v_add_f16_e32 v53, v13, v53
	v_mul_f16_e32 v13, 0xb482, v25
	v_fma_f16 v41, v21, s0, v40
	v_fma_f16 v40, v20, s4, -v13
	v_add_f16_e32 v47, v47, v52
	v_add_f16_e32 v52, v41, v55
	;; [unrolled: 1-line block ×3, first 2 shown]
	v_mul_f16_e32 v40, 0xb482, v22
	v_fma_f16 v13, v20, s4, v13
	v_add_f16_e32 v57, v57, v61
	v_add_f16_e32 v54, v13, v54
	v_fma_f16 v13, v21, s4, -v40
	v_add_f16_e32 v63, v63, v65
	v_add_f16_e32 v57, v13, v57
	v_mul_f16_e32 v13, 0x3b47, v25
	v_add_f16_e32 v62, v62, v66
	v_add_f16_e32 v64, v64, v67
	;; [unrolled: 1-line block ×3, first 2 shown]
	v_fma_f16 v41, v21, s4, v40
	v_fma_f16 v25, v20, s1, -v13
	v_mul_f16_e32 v22, 0x3b47, v22
	v_fma_f16 v13, v20, s1, v13
	v_add_f16_e32 v58, v58, v62
	v_add_f16_e32 v60, v60, v64
	;; [unrolled: 1-line block ×3, first 2 shown]
	v_fma_f16 v40, v21, s1, v22
	v_add_f16_e32 v59, v13, v19
	v_fma_f16 v13, v21, s1, -v22
	v_add_f16_e32 v61, v23, v24
	v_sub_f16_e32 v63, v23, v24
	v_sub_f16_e32 v24, v43, v44
	v_add_f16_e32 v25, v25, v58
	v_add_f16_e32 v58, v40, v60
	;; [unrolled: 1-line block ×4, first 2 shown]
	v_mul_f16_e32 v13, 0xb482, v24
	v_mul_f16_e32 v19, 0xb482, v63
	v_fma_f16 v18, v61, s4, -v13
	v_fma_f16 v20, v62, s4, v19
	v_add_f16_e32 v18, v18, v29
	v_add_f16_e32 v40, v20, v45
	v_fma_f16 v19, v62, s4, -v19
	v_mul_f16_e32 v20, 0x3853, v24
	v_mul_f16_e32 v21, 0x3853, v63
	;; [unrolled: 1-line block ×3, first 2 shown]
	v_fma_f16 v13, v61, s4, v13
	v_add_f16_e32 v43, v19, v42
	v_fma_f16 v19, v61, s0, -v20
	v_fma_f16 v22, v62, s0, v21
	v_fma_f16 v20, v61, s0, v20
	v_mul_f16_e32 v23, 0xba0c, v63
	v_fma_f16 v45, v62, s1, v29
	v_fma_f16 v29, v62, s1, -v29
	v_add_f16_e32 v13, v13, v26
	v_add_f16_e32 v41, v22, v47
	;; [unrolled: 1-line block ×3, first 2 shown]
	v_fma_f16 v20, v62, s0, -v21
	v_fma_f16 v26, v62, s3, v23
	v_add_f16_e32 v48, v29, v57
	v_mul_f16_e32 v29, 0xbbeb, v24
	v_add_f16_e32 v44, v20, v49
	v_mul_f16_e32 v21, 0xba0c, v24
	;; [unrolled: 2-line block ×3, first 2 shown]
	v_fma_f16 v24, v61, s2, -v29
	v_mul_f16_e32 v49, 0xbbeb, v63
	v_add_f16_e32 v24, v24, v25
	v_fma_f16 v25, v62, s2, v49
	v_fma_f16 v20, v61, s3, -v21
	v_fma_f16 v21, v61, s3, v21
	v_fma_f16 v23, v62, s3, -v23
	v_add_f16_e32 v47, v25, v58
	v_fma_f16 v25, v61, s2, v29
	v_fma_f16 v29, v62, s2, -v49
	v_add_f16_e32 v19, v19, v46
	v_add_f16_e32 v20, v20, v51
	;; [unrolled: 1-line block ×4, first 2 shown]
	v_fma_f16 v23, v61, s1, -v26
	v_add_f16_e32 v49, v29, v60
	v_lshl_add_u32 v29, v27, 2, v30
	v_pack_b32_f16 v50, v18, v40
	v_add_f16_e32 v23, v23, v55
	v_add_f16_e32 v45, v45, v56
	v_fma_f16 v26, v61, s1, v26
	ds_write2_b32 v29, v17, v50 offset1:17
	v_pack_b32_f16 v50, v19, v41
	v_pack_b32_f16 v51, v20, v42
	v_add_f16_e32 v26, v26, v54
	v_add_f16_e32 v25, v25, v59
	ds_write2_b32 v29, v50, v51 offset0:34 offset1:51
	v_pack_b32_f16 v50, v23, v45
	v_pack_b32_f16 v51, v24, v47
	ds_write2_b32 v29, v50, v51 offset0:68 offset1:85
	v_pack_b32_f16 v50, v25, v49
	v_pack_b32_f16 v51, v26, v48
	;; [unrolled: 3-line block ×3, first 2 shown]
	ds_write2_b32 v29, v50, v51 offset0:136 offset1:153
	v_pack_b32_f16 v50, v13, v43
	ds_write_b32 v29, v50 offset:680
	s_waitcnt lgkmcnt(0)
	s_barrier
	s_and_saveexec_b64 s[0:1], vcc
	s_cbranch_execz .LBB0_9
; %bb.8:
	global_load_dword v62, v28, s[6:7] offset:748
	s_add_u32 s2, s6, 0x2ec
	s_addc_u32 s3, s7, 0
	global_load_dword v63, v28, s[2:3] offset:44
	global_load_dword v64, v28, s[2:3] offset:88
	;; [unrolled: 1-line block ×10, first 2 shown]
	ds_read2_b32 v[50:51], v29 offset1:11
	ds_read2_b32 v[52:53], v29 offset0:22 offset1:33
	ds_read2_b32 v[54:55], v29 offset0:44 offset1:55
	;; [unrolled: 1-line block ×3, first 2 shown]
	global_load_dword v73, v28, s[2:3] offset:484
	ds_read2_b32 v[58:59], v29 offset0:88 offset1:99
	ds_read2_b32 v[60:61], v29 offset0:110 offset1:121
	global_load_dword v74, v28, s[2:3] offset:528
	global_load_dword v75, v28, s[2:3] offset:572
	;; [unrolled: 1-line block ×5, first 2 shown]
	s_waitcnt lgkmcnt(5)
	v_lshrrev_b32_e32 v79, 16, v50
	v_lshrrev_b32_e32 v80, 16, v51
	s_waitcnt lgkmcnt(4)
	v_lshrrev_b32_e32 v81, 16, v52
	v_lshrrev_b32_e32 v82, 16, v53
	;; [unrolled: 3-line block ×5, first 2 shown]
	s_waitcnt vmcnt(13)
	v_mul_f16_sdwa v91, v82, v65 dst_sel:DWORD dst_unused:UNUSED_PAD src0_sel:DWORD src1_sel:WORD_1
	v_mul_f16_sdwa v92, v53, v65 dst_sel:DWORD dst_unused:UNUSED_PAD src0_sel:DWORD src1_sel:WORD_1
	s_waitcnt vmcnt(12)
	v_mul_f16_sdwa v93, v83, v66 dst_sel:DWORD dst_unused:UNUSED_PAD src0_sel:DWORD src1_sel:WORD_1
	v_mul_f16_sdwa v94, v54, v66 dst_sel:DWORD dst_unused:UNUSED_PAD src0_sel:DWORD src1_sel:WORD_1
	;; [unrolled: 1-line block ×4, first 2 shown]
	v_fma_f16 v50, v50, v62, -v89
	v_fma_f16 v62, v79, v62, v90
	v_pack_b32_f16 v50, v50, v62
	v_mul_f16_sdwa v62, v80, v63 dst_sel:DWORD dst_unused:UNUSED_PAD src0_sel:DWORD src1_sel:WORD_1
	v_mul_f16_sdwa v79, v51, v63 dst_sel:DWORD dst_unused:UNUSED_PAD src0_sel:DWORD src1_sel:WORD_1
	;; [unrolled: 1-line block ×4, first 2 shown]
	s_waitcnt vmcnt(11)
	v_mul_f16_sdwa v95, v84, v67 dst_sel:DWORD dst_unused:UNUSED_PAD src0_sel:DWORD src1_sel:WORD_1
	v_mul_f16_sdwa v96, v55, v67 dst_sel:DWORD dst_unused:UNUSED_PAD src0_sel:DWORD src1_sel:WORD_1
	s_waitcnt vmcnt(10)
	v_mul_f16_sdwa v97, v85, v68 dst_sel:DWORD dst_unused:UNUSED_PAD src0_sel:DWORD src1_sel:WORD_1
	v_mul_f16_sdwa v98, v56, v68 dst_sel:DWORD dst_unused:UNUSED_PAD src0_sel:DWORD src1_sel:WORD_1
	;; [unrolled: 3-line block ×3, first 2 shown]
	v_fma_f16 v51, v51, v63, -v62
	v_fma_f16 v62, v80, v63, v79
	v_fma_f16 v52, v52, v64, -v89
	v_fma_f16 v63, v81, v64, v90
	;; [unrolled: 2-line block ×7, first 2 shown]
	v_pack_b32_f16 v51, v51, v62
	s_waitcnt vmcnt(8)
	v_mul_f16_sdwa v101, v87, v70 dst_sel:DWORD dst_unused:UNUSED_PAD src0_sel:DWORD src1_sel:WORD_1
	v_mul_f16_sdwa v102, v58, v70 dst_sel:DWORD dst_unused:UNUSED_PAD src0_sel:DWORD src1_sel:WORD_1
	s_waitcnt vmcnt(7)
	v_mul_f16_sdwa v103, v88, v71 dst_sel:DWORD dst_unused:UNUSED_PAD src0_sel:DWORD src1_sel:WORD_1
	v_pack_b32_f16 v52, v52, v63
	v_pack_b32_f16 v53, v53, v64
	;; [unrolled: 1-line block ×6, first 2 shown]
	ds_write2_b32 v29, v50, v51 offset1:11
	ds_write2_b32 v29, v52, v53 offset0:22 offset1:33
	ds_write2_b32 v29, v54, v55 offset0:44 offset1:55
	;; [unrolled: 1-line block ×3, first 2 shown]
	v_mul_f16_sdwa v50, v59, v71 dst_sel:DWORD dst_unused:UNUSED_PAD src0_sel:DWORD src1_sel:WORD_1
	v_fma_f16 v58, v58, v70, -v101
	v_fma_f16 v69, v87, v70, v102
	v_fma_f16 v70, v59, v71, -v103
	v_fma_f16 v50, v88, v71, v50
	v_pack_b32_f16 v58, v58, v69
	v_pack_b32_f16 v50, v70, v50
	ds_write2_b32 v29, v58, v50 offset0:88 offset1:99
	s_waitcnt lgkmcnt(5)
	v_lshrrev_b32_e32 v50, 16, v60
	s_waitcnt vmcnt(6)
	v_mul_f16_sdwa v51, v50, v72 dst_sel:DWORD dst_unused:UNUSED_PAD src0_sel:DWORD src1_sel:WORD_1
	v_mul_f16_sdwa v52, v60, v72 dst_sel:DWORD dst_unused:UNUSED_PAD src0_sel:DWORD src1_sel:WORD_1
	v_fma_f16 v51, v60, v72, -v51
	v_fma_f16 v50, v50, v72, v52
	v_lshrrev_b32_e32 v53, 16, v61
	v_pack_b32_f16 v52, v51, v50
	s_waitcnt vmcnt(5)
	v_mul_f16_sdwa v50, v53, v73 dst_sel:DWORD dst_unused:UNUSED_PAD src0_sel:DWORD src1_sel:WORD_1
	v_fma_f16 v54, v61, v73, -v50
	ds_read2_b32 v[50:51], v29 offset0:132 offset1:143
	v_mul_f16_sdwa v55, v61, v73 dst_sel:DWORD dst_unused:UNUSED_PAD src0_sel:DWORD src1_sel:WORD_1
	v_fma_f16 v53, v53, v73, v55
	v_pack_b32_f16 v53, v54, v53
	ds_write2_b32 v29, v52, v53 offset0:110 offset1:121
	s_waitcnt lgkmcnt(1)
	v_lshrrev_b32_e32 v52, 16, v50
	s_waitcnt vmcnt(4)
	v_mul_f16_sdwa v53, v52, v74 dst_sel:DWORD dst_unused:UNUSED_PAD src0_sel:DWORD src1_sel:WORD_1
	v_fma_f16 v53, v50, v74, -v53
	v_mul_f16_sdwa v50, v50, v74 dst_sel:DWORD dst_unused:UNUSED_PAD src0_sel:DWORD src1_sel:WORD_1
	v_lshrrev_b32_e32 v54, 16, v51
	v_fma_f16 v50, v52, v74, v50
	s_waitcnt vmcnt(3)
	v_mul_f16_sdwa v52, v54, v75 dst_sel:DWORD dst_unused:UNUSED_PAD src0_sel:DWORD src1_sel:WORD_1
	v_pack_b32_f16 v50, v53, v50
	v_fma_f16 v55, v51, v75, -v52
	ds_read2_b32 v[52:53], v29 offset0:154 offset1:165
	v_mul_f16_sdwa v51, v51, v75 dst_sel:DWORD dst_unused:UNUSED_PAD src0_sel:DWORD src1_sel:WORD_1
	v_fma_f16 v51, v54, v75, v51
	v_pack_b32_f16 v51, v55, v51
	ds_write2_b32 v29, v50, v51 offset0:132 offset1:143
	s_waitcnt lgkmcnt(1)
	v_lshrrev_b32_e32 v50, 16, v52
	s_waitcnt vmcnt(2)
	v_mul_f16_sdwa v51, v50, v76 dst_sel:DWORD dst_unused:UNUSED_PAD src0_sel:DWORD src1_sel:WORD_1
	v_fma_f16 v51, v52, v76, -v51
	v_mul_f16_sdwa v52, v52, v76 dst_sel:DWORD dst_unused:UNUSED_PAD src0_sel:DWORD src1_sel:WORD_1
	v_fma_f16 v50, v50, v76, v52
	v_pack_b32_f16 v50, v51, v50
	v_lshrrev_b32_e32 v51, 16, v53
	ds_read_b32 v54, v29 offset:704
	s_waitcnt vmcnt(1)
	v_mul_f16_sdwa v52, v51, v77 dst_sel:DWORD dst_unused:UNUSED_PAD src0_sel:DWORD src1_sel:WORD_1
	v_fma_f16 v52, v53, v77, -v52
	v_mul_f16_sdwa v53, v53, v77 dst_sel:DWORD dst_unused:UNUSED_PAD src0_sel:DWORD src1_sel:WORD_1
	v_fma_f16 v51, v51, v77, v53
	v_pack_b32_f16 v51, v52, v51
	ds_write2_b32 v29, v50, v51 offset0:154 offset1:165
	s_waitcnt lgkmcnt(1)
	v_lshrrev_b32_e32 v50, 16, v54
	s_waitcnt vmcnt(0)
	v_mul_f16_sdwa v51, v50, v78 dst_sel:DWORD dst_unused:UNUSED_PAD src0_sel:DWORD src1_sel:WORD_1
	v_mul_f16_sdwa v52, v54, v78 dst_sel:DWORD dst_unused:UNUSED_PAD src0_sel:DWORD src1_sel:WORD_1
	v_fma_f16 v51, v54, v78, -v51
	v_fma_f16 v50, v50, v78, v52
	v_pack_b32_f16 v50, v51, v50
	ds_write_b32 v29, v50 offset:704
.LBB0_9:
	s_or_b64 exec, exec, s[0:1]
	s_waitcnt lgkmcnt(0)
	s_barrier
	s_and_saveexec_b64 s[0:1], vcc
	s_cbranch_execz .LBB0_11
; %bb.10:
	ds_read2_b32 v[17:18], v29 offset1:11
	ds_read2_b32 v[19:20], v29 offset0:22 offset1:33
	ds_read2_b32 v[23:24], v29 offset0:44 offset1:55
	;; [unrolled: 1-line block ×7, first 2 shown]
	ds_read_b32 v32, v29 offset:704
	s_waitcnt lgkmcnt(8)
	v_lshrrev_b32_e32 v40, 16, v18
	s_waitcnt lgkmcnt(7)
	v_lshrrev_b32_e32 v41, 16, v19
	v_lshrrev_b32_e32 v42, 16, v20
	s_waitcnt lgkmcnt(6)
	v_lshrrev_b32_e32 v45, 16, v23
	;; [unrolled: 3-line block ×8, first 2 shown]
.LBB0_11:
	s_or_b64 exec, exec, s[0:1]
	s_barrier
	s_and_saveexec_b64 s[0:1], vcc
	s_cbranch_execz .LBB0_13
; %bb.12:
	v_add_f16_e32 v73, v33, v40
	v_mul_f16_e32 v74, 0xbbdd, v73
	v_sub_f16_e32 v51, v18, v32
	s_movk_i32 s25, 0x31e1
	v_add_f16_e32 v75, v34, v41
	v_fma_f16 v50, v51, s25, v74
	v_mul_f16_e32 v76, 0x3b76, v75
	v_sub_f16_e32 v52, v19, v10
	s_mov_b32 s15, 0xb5c8
	v_add_f16_sdwa v50, v50, v17 dst_sel:DWORD dst_unused:UNUSED_PAD src0_sel:DWORD src1_sel:WORD_1
	v_fma_f16 v53, v52, s15, v76
	v_add_f16_e32 v77, v35, v42
	v_add_f16_e32 v50, v53, v50
	v_mul_f16_e32 v78, 0xbacd, v77
	v_sub_f16_e32 v53, v20, v9
	s_movk_i32 s21, 0x3836
	v_fma_f16 v54, v53, s21, v78
	v_add_f16_e32 v79, v36, v45
	v_add_f16_e32 v50, v54, v50
	v_mul_f16_e32 v80, 0x39e9, v79
	v_sub_f16_e32 v54, v23, v12
	s_mov_b32 s18, 0xb964
	v_fma_f16 v55, v54, s18, v80
	v_add_f16_e32 v81, v38, v47
	v_add_f16_e32 v50, v55, v50
	v_mul_f16_e32 v82, 0xb8d2, v81
	v_sub_f16_e32 v55, v24, v11
	s_movk_i32 s31, 0x3a62
	v_add_f16_e32 v83, v37, v49
	v_fma_f16 v56, v55, s31, v82
	v_mul_f16_e32 v84, 0x3722, v83
	v_sub_f16_e32 v57, v25, v14
	s_mov_b32 s20, 0xbb29
	v_add_f16_e32 v85, v43, v48
	v_add_f16_e32 v50, v56, v50
	v_fma_f16 v56, v57, s20, v84
	v_mul_f16_e32 v86, 0xb461, v85
	v_sub_f16_e32 v58, v26, v13
	s_movk_i32 s26, 0x3bb2
	v_add_f16_e32 v87, v44, v46
	v_add_f16_e32 v50, v56, v50
	v_fma_f16 v56, v58, s26, v86
	v_mul_f16_e32 v88, 0x2de8, v87
	v_sub_f16_e32 v59, v21, v22
	s_mov_b32 s23, 0xbbf7
	v_sub_f16_e32 v89, v40, v33
	s_mov_b32 s2, 0xbbdd
	v_add_f16_e32 v50, v56, v50
	v_fma_f16 v56, v59, s23, v88
	v_add_f16_e32 v60, v32, v18
	v_mul_f16_e32 v90, 0xb1e1, v89
	v_sub_f16_e32 v91, v41, v34
	s_movk_i32 s4, 0x3b76
	v_add_f16_e32 v50, v56, v50
	v_fma_f16 v56, v60, s2, v90
	v_add_f16_e32 v61, v10, v19
	v_mul_f16_e32 v92, 0x35c8, v91
	v_add_f16_e32 v56, v56, v17
	v_fma_f16 v62, v61, s4, v92
	v_sub_f16_e32 v93, v42, v35
	s_mov_b32 s3, 0xbacd
	v_add_f16_e32 v56, v62, v56
	v_add_f16_e32 v62, v9, v20
	v_mul_f16_e32 v94, 0xb836, v93
	v_sub_f16_e32 v95, v45, v36
	s_movk_i32 s14, 0x39e9
	v_fma_f16 v63, v62, s3, v94
	v_add_f16_e32 v64, v12, v23
	v_mul_f16_e32 v96, 0x3964, v95
	v_sub_f16_e32 v97, v47, v38
	s_mov_b32 s5, 0xb8d2
	v_add_f16_e32 v56, v63, v56
	v_fma_f16 v63, v64, s14, v96
	v_add_f16_e32 v65, v11, v24
	v_mul_f16_e32 v98, 0xba62, v97
	v_sub_f16_e32 v99, v49, v37
	s_movk_i32 s16, 0x3722
	v_add_f16_e32 v56, v63, v56
	v_fma_f16 v63, v65, s5, v98
	v_add_f16_e32 v66, v14, v25
	v_mul_f16_e32 v100, 0x3b29, v99
	v_sub_f16_e32 v101, v48, v43
	s_mov_b32 s17, 0xb461
	v_add_f16_e32 v56, v63, v56
	v_fma_f16 v63, v66, s16, v100
	v_add_f16_e32 v67, v13, v26
	v_mul_f16_e32 v102, 0xbbb2, v101
	v_sub_f16_e32 v103, v46, v44
	s_movk_i32 s19, 0x2de8
	v_add_f16_e32 v56, v63, v56
	v_fma_f16 v63, v67, s17, v102
	v_add_f16_e32 v68, v22, v21
	v_mul_f16_e32 v104, 0x3bf7, v103
	v_add_f16_e32 v56, v63, v56
	v_fma_f16 v63, v68, s19, v104
	v_mul_f16_e32 v105, 0xbacd, v73
	v_add_f16_e32 v56, v63, v56
	v_fma_f16 v63, v51, s21, v105
	v_mul_f16_e32 v106, 0x3722, v75
	s_movk_i32 s34, 0x3bf7
	v_add_f16_sdwa v63, v63, v17 dst_sel:DWORD dst_unused:UNUSED_PAD src0_sel:DWORD src1_sel:WORD_1
	v_fma_f16 v69, v52, s20, v106
	v_mul_f16_e32 v107, 0x2de8, v77
	s_mov_b32 s27, 0xba62
	v_add_f16_e32 v63, v69, v63
	v_fma_f16 v69, v53, s34, v107
	v_mul_f16_e32 v108, 0xb8d2, v79
	s_movk_i32 s28, 0x35c8
	v_add_f16_e32 v63, v69, v63
	v_fma_f16 v69, v54, s27, v108
	v_mul_f16_e32 v109, 0x3b76, v81
	v_add_f16_e32 v63, v69, v63
	v_fma_f16 v69, v55, s28, v109
	v_mul_f16_e32 v110, 0xbbdd, v83
	v_add_f16_e32 v63, v69, v63
	v_fma_f16 v69, v57, s25, v110
	v_mul_f16_e32 v111, 0x39e9, v85
	v_add_f16_e32 v63, v69, v63
	v_fma_f16 v69, v58, s18, v111
	v_mul_f16_e32 v112, 0xb461, v87
	v_add_f16_e32 v63, v69, v63
	v_fma_f16 v69, v59, s26, v112
	v_mul_f16_e32 v113, 0xb836, v89
	v_add_f16_e32 v63, v69, v63
	v_fma_f16 v69, v60, s3, v113
	v_mul_f16_e32 v114, 0x3b29, v91
	v_add_f16_e32 v69, v69, v17
	v_fma_f16 v70, v61, s16, v114
	v_mul_f16_e32 v115, 0xbbf7, v93
	v_add_f16_e32 v69, v70, v69
	v_fma_f16 v70, v62, s19, v115
	v_mul_f16_e32 v116, 0x3a62, v95
	v_add_f16_e32 v69, v70, v69
	v_fma_f16 v70, v64, s5, v116
	v_mul_f16_e32 v117, 0xb5c8, v97
	v_add_f16_e32 v69, v70, v69
	v_fma_f16 v70, v65, s4, v117
	v_mul_f16_e32 v118, 0xb1e1, v99
	v_add_f16_e32 v69, v70, v69
	v_fma_f16 v70, v66, s2, v118
	v_mul_f16_e32 v119, 0x3964, v101
	v_add_f16_e32 v69, v70, v69
	v_fma_f16 v70, v67, s14, v119
	v_mul_f16_e32 v120, 0xbbb2, v103
	v_add_f16_e32 v69, v70, v69
	v_fma_f16 v70, v68, s17, v120
	v_mul_f16_e32 v121, 0xb8d2, v73
	s_mov_b32 s29, 0xbbb2
	v_add_f16_e32 v69, v70, v69
	v_fma_f16 v70, v51, s31, v121
	v_mul_f16_e32 v122, 0xb461, v75
	v_add_f16_sdwa v70, v70, v17 dst_sel:DWORD dst_unused:UNUSED_PAD src0_sel:DWORD src1_sel:WORD_1
	v_fma_f16 v71, v52, s29, v122
	v_mul_f16_e32 v123, 0x3b76, v77
	v_add_f16_e32 v70, v71, v70
	v_fma_f16 v71, v53, s28, v123
	v_mul_f16_e32 v124, 0xbacd, v79
	v_add_f16_e32 v70, v71, v70
	v_fma_f16 v71, v54, s21, v124
	v_mul_f16_e32 v125, 0x2de8, v81
	s_movk_i32 s33, 0x3964
	v_add_f16_e32 v70, v71, v70
	v_fma_f16 v71, v55, s23, v125
	v_mul_f16_e32 v126, 0x39e9, v83
	v_add_f16_e32 v70, v71, v70
	v_fma_f16 v71, v57, s33, v126
	v_mul_f16_e32 v127, 0xbbdd, v85
	;; [unrolled: 3-line block ×12, first 2 shown]
	s_mov_b32 s24, 0xb836
	v_add_f16_e32 v71, v72, v71
	v_fma_f16 v72, v51, s26, v137
	v_mul_f16_e32 v138, 0xbacd, v75
	v_add_f16_sdwa v72, v72, v17 dst_sel:DWORD dst_unused:UNUSED_PAD src0_sel:DWORD src1_sel:WORD_1
	v_fma_f16 v139, v52, s24, v138
	v_add_f16_e32 v72, v139, v72
	v_mul_f16_e32 v139, 0x39e9, v77
	v_fma_f16 v140, v53, s18, v139
	s_movk_i32 s30, 0x3b29
	v_add_f16_e32 v72, v140, v72
	v_mul_f16_e32 v140, 0x3722, v79
	v_fma_f16 v141, v54, s30, v140
	v_add_f16_e32 v72, v141, v72
	v_mul_f16_e32 v141, 0xbbdd, v81
	v_fma_f16 v142, v55, s25, v141
	;; [unrolled: 3-line block ×6, first 2 shown]
	v_mul_f16_e32 v147, 0x3836, v91
	v_add_f16_e32 v146, v146, v17
	v_fma_f16 v148, v61, s3, v147
	v_add_f16_e32 v146, v148, v146
	v_mul_f16_e32 v148, 0x3964, v93
	v_fma_f16 v149, v62, s14, v148
	v_add_f16_e32 v146, v149, v146
	v_mul_f16_e32 v149, 0xbb29, v95
	;; [unrolled: 3-line block ×3, first 2 shown]
	s_mov_b32 s22, 0xb1e1
	v_fma_f16 v151, v65, s2, v150
	v_add_f16_e32 v146, v151, v146
	v_mul_f16_e32 v151, 0x3bf7, v99
	v_fma_f16 v74, v51, s22, v74
	v_fma_f16 v152, v66, s19, v151
	v_add_f16_sdwa v74, v74, v17 dst_sel:DWORD dst_unused:UNUSED_PAD src0_sel:DWORD src1_sel:WORD_1
	v_fma_f16 v76, v52, s28, v76
	v_add_f16_e32 v146, v152, v146
	v_mul_f16_e32 v152, 0xb5c8, v101
	v_add_f16_e32 v74, v76, v74
	v_fma_f16 v76, v53, s24, v78
	v_fma_f16 v153, v67, s4, v152
	v_add_f16_e32 v74, v76, v74
	v_fma_f16 v76, v54, s33, v80
	v_add_f16_e32 v146, v153, v146
	v_mul_f16_e32 v153, 0xba62, v103
	v_add_f16_e32 v74, v76, v74
	v_fma_f16 v76, v55, s27, v82
	v_fma_f16 v154, v68, s5, v153
	v_add_f16_e32 v74, v76, v74
	v_fma_f16 v76, v57, s30, v84
	v_add_f16_e32 v146, v154, v146
	v_mul_f16_e32 v154, 0x2de8, v73
	v_add_f16_e32 v74, v76, v74
	v_fma_f16 v76, v58, s29, v86
	v_fma_f16 v155, v51, s34, v154
	v_mul_f16_e32 v156, 0xbbdd, v75
	v_add_f16_e32 v74, v76, v74
	v_fma_f16 v76, v59, s34, v88
	v_add_f16_sdwa v155, v155, v17 dst_sel:DWORD dst_unused:UNUSED_PAD src0_sel:DWORD src1_sel:WORD_1
	v_fma_f16 v157, v52, s25, v156
	v_add_f16_e32 v74, v76, v74
	v_fma_f16 v76, v60, s2, -v90
	v_add_f16_e32 v155, v157, v155
	v_mul_f16_e32 v157, 0xb461, v77
	v_add_f16_e32 v76, v76, v17
	v_fma_f16 v78, v61, s4, -v92
	v_fma_f16 v158, v53, s29, v157
	v_add_f16_e32 v76, v78, v76
	v_fma_f16 v78, v62, s3, -v94
	v_add_f16_e32 v155, v158, v155
	v_mul_f16_e32 v158, 0x3b76, v79
	v_add_f16_e32 v76, v78, v76
	v_fma_f16 v78, v64, s14, -v96
	;; [unrolled: 7-line block ×4, first 2 shown]
	v_fma_f16 v161, v57, s21, v160
	v_add_f16_e32 v76, v78, v76
	v_fma_f16 v78, v51, s24, v105
	v_add_f16_e32 v155, v161, v155
	v_mul_f16_e32 v161, 0xb8d2, v85
	v_add_f16_sdwa v78, v78, v17 dst_sel:DWORD dst_unused:UNUSED_PAD src0_sel:DWORD src1_sel:WORD_1
	v_fma_f16 v80, v52, s30, v106
	v_fma_f16 v162, v58, s27, v161
	v_add_f16_e32 v78, v80, v78
	v_fma_f16 v80, v53, s23, v107
	v_add_f16_e32 v155, v162, v155
	v_mul_f16_e32 v162, 0x39e9, v87
	v_add_f16_e32 v78, v80, v78
	v_fma_f16 v80, v54, s31, v108
	v_fma_f16 v163, v59, s18, v162
	v_add_f16_e32 v78, v80, v78
	v_fma_f16 v80, v55, s15, v109
	v_add_f16_e32 v155, v163, v155
	v_mul_f16_e32 v163, 0xbbf7, v89
	v_add_f16_e32 v78, v80, v78
	v_fma_f16 v80, v57, s22, v110
	v_fma_f16 v164, v60, s19, v163
	v_mul_f16_e32 v165, 0xb1e1, v91
	v_add_f16_e32 v78, v80, v78
	v_fma_f16 v80, v58, s33, v111
	v_add_f16_e32 v164, v164, v17
	v_fma_f16 v166, v61, s2, v165
	;; [unrolled: 2-line block ×3, first 2 shown]
	v_add_f16_e32 v164, v166, v164
	v_mul_f16_e32 v166, 0x3bb2, v93
	v_add_f16_e32 v78, v80, v78
	v_fma_f16 v80, v60, s3, -v113
	v_fma_f16 v167, v62, s17, v166
	v_add_f16_e32 v80, v80, v17
	v_fma_f16 v82, v61, s16, -v114
	v_add_f16_e32 v164, v167, v164
	v_mul_f16_e32 v167, 0x35c8, v95
	v_add_f16_e32 v80, v82, v80
	v_fma_f16 v82, v62, s19, -v115
	v_fma_f16 v168, v64, s4, v167
	v_add_f16_e32 v80, v82, v80
	v_fma_f16 v82, v64, s5, -v116
	v_add_f16_e32 v164, v168, v164
	v_mul_f16_e32 v168, 0xbb29, v97
	v_add_f16_e32 v80, v82, v80
	v_fma_f16 v82, v65, s4, -v117
	v_fma_f16 v169, v65, s16, v168
	v_add_f16_e32 v80, v82, v80
	v_fma_f16 v82, v66, s2, -v118
	v_add_f16_e32 v164, v169, v164
	v_mul_f16_e32 v169, 0xb836, v99
	v_add_f16_e32 v80, v82, v80
	v_fma_f16 v82, v67, s14, -v119
	v_fma_f16 v170, v66, s3, v169
	v_add_f16_e32 v80, v82, v80
	v_fma_f16 v82, v68, s17, -v120
	v_add_f16_e32 v164, v170, v164
	v_mul_f16_e32 v170, 0x3a62, v101
	v_add_f16_e32 v80, v82, v80
	v_fma_f16 v82, v51, s27, v121
	v_fma_f16 v171, v67, s5, v170
	v_add_f16_sdwa v82, v82, v17 dst_sel:DWORD dst_unused:UNUSED_PAD src0_sel:DWORD src1_sel:WORD_1
	v_fma_f16 v84, v52, s26, v122
	v_add_f16_e32 v164, v171, v164
	v_mul_f16_e32 v171, 0x3964, v103
	v_add_f16_e32 v82, v84, v82
	v_fma_f16 v84, v53, s15, v123
	v_fma_f16 v172, v68, s14, v171
	v_add_f16_e32 v82, v84, v82
	v_fma_f16 v84, v54, s24, v124
	v_add_f16_e32 v164, v172, v164
	v_mul_f16_e32 v172, 0x3722, v73
	v_add_f16_e32 v82, v84, v82
	v_fma_f16 v84, v55, s34, v125
	v_fma_f16 v173, v51, s30, v172
	v_mul_f16_e32 v174, 0xb8d2, v75
	v_add_f16_e32 v82, v84, v82
	v_fma_f16 v84, v57, s18, v126
	v_add_f16_sdwa v173, v173, v17 dst_sel:DWORD dst_unused:UNUSED_PAD src0_sel:DWORD src1_sel:WORD_1
	v_fma_f16 v175, v52, s31, v174
	v_add_f16_e32 v82, v84, v82
	v_fma_f16 v84, v58, s22, v127
	v_add_f16_e32 v173, v175, v173
	v_mul_f16_e32 v175, 0xbbdd, v77
	v_add_f16_e32 v82, v84, v82
	v_fma_f16 v84, v59, s30, v128
	v_fma_f16 v176, v53, s22, v175
	v_add_f16_e32 v82, v84, v82
	v_fma_f16 v84, v60, s5, -v129
	v_add_f16_e32 v173, v176, v173
	v_mul_f16_e32 v176, 0xb461, v79
	v_add_f16_e32 v84, v84, v17
	v_fma_f16 v86, v61, s17, -v130
	v_fma_f16 v177, v54, s29, v176
	v_add_f16_e32 v84, v86, v84
	v_fma_f16 v86, v62, s4, -v131
	v_add_f16_e32 v173, v177, v173
	v_mul_f16_e32 v177, 0x39e9, v81
	v_add_f16_e32 v84, v86, v84
	v_fma_f16 v86, v64, s3, -v132
	;; [unrolled: 7-line block ×4, first 2 shown]
	v_fma_f16 v180, v58, s34, v179
	v_add_f16_e32 v84, v86, v84
	v_fma_f16 v86, v51, s29, v137
	v_add_f16_e32 v173, v180, v173
	v_mul_f16_e32 v180, 0xbacd, v87
	v_add_f16_sdwa v86, v86, v17 dst_sel:DWORD dst_unused:UNUSED_PAD src0_sel:DWORD src1_sel:WORD_1
	v_fma_f16 v88, v52, s21, v138
	v_fma_f16 v181, v59, s21, v180
	v_add_f16_e32 v86, v88, v86
	v_fma_f16 v88, v53, s33, v139
	v_add_f16_e32 v173, v181, v173
	v_mul_f16_e32 v181, 0xbb29, v89
	v_add_f16_e32 v86, v88, v86
	v_fma_f16 v88, v54, s20, v140
	v_fma_f16 v182, v60, s16, v181
	v_mul_f16_e32 v183, 0xba62, v91
	v_add_f16_e32 v86, v88, v86
	v_fma_f16 v88, v55, s22, v141
	v_add_f16_e32 v182, v182, v17
	v_fma_f16 v184, v61, s5, v183
	;; [unrolled: 2-line block ×3, first 2 shown]
	v_add_f16_e32 v182, v184, v182
	v_mul_f16_e32 v184, 0x31e1, v93
	v_add_f16_e32 v86, v88, v86
	v_fma_f16 v88, v58, s15, v143
	v_fma_f16 v185, v62, s2, v184
	v_add_f16_e32 v86, v88, v86
	v_fma_f16 v88, v59, s27, v144
	v_add_f16_e32 v182, v185, v182
	v_mul_f16_e32 v185, 0x3bb2, v95
	v_add_f16_e32 v86, v88, v86
	v_fma_f16 v88, v60, s17, -v145
	v_fma_f16 v186, v64, s17, v185
	v_add_f16_e32 v88, v88, v17
	v_fma_f16 v90, v61, s3, -v147
	v_add_f16_e32 v182, v186, v182
	v_mul_f16_e32 v186, 0x3964, v97
	v_add_f16_e32 v88, v90, v88
	v_fma_f16 v90, v62, s14, -v148
	v_fma_f16 v187, v65, s14, v186
	v_add_f16_e32 v88, v90, v88
	v_fma_f16 v90, v64, s16, -v149
	;; [unrolled: 7-line block ×4, first 2 shown]
	v_add_f16_e32 v182, v189, v182
	v_mul_f16_e32 v189, 0xb836, v103
	v_add_f16_e32 v88, v90, v88
	v_fma_f16 v90, v51, s23, v154
	v_fma_f16 v190, v68, s3, v189
	v_add_f16_sdwa v90, v90, v17 dst_sel:DWORD dst_unused:UNUSED_PAD src0_sel:DWORD src1_sel:WORD_1
	v_fma_f16 v92, v52, s22, v156
	v_add_f16_e32 v182, v190, v182
	v_mul_f16_e32 v190, 0x39e9, v73
	v_add_f16_e32 v90, v92, v90
	v_fma_f16 v92, v53, s26, v157
	v_fma_f16 v191, v51, s33, v190
	v_mul_f16_e32 v192, 0x2de8, v75
	v_add_f16_e32 v90, v92, v90
	v_fma_f16 v92, v54, s28, v158
	v_add_f16_sdwa v191, v191, v17 dst_sel:DWORD dst_unused:UNUSED_PAD src0_sel:DWORD src1_sel:WORD_1
	v_fma_f16 v193, v52, s34, v192
	v_add_f16_e32 v90, v92, v90
	v_fma_f16 v92, v55, s20, v159
	v_add_f16_e32 v191, v193, v191
	v_mul_f16_e32 v193, 0xb8d2, v77
	v_add_f16_e32 v90, v92, v90
	v_fma_f16 v92, v57, s24, v160
	v_fma_f16 v194, v53, s31, v193
	v_add_f16_e32 v90, v92, v90
	v_fma_f16 v92, v58, s31, v161
	v_add_f16_e32 v191, v194, v191
	v_mul_f16_e32 v194, 0xbbdd, v79
	v_add_f16_e32 v90, v92, v90
	v_fma_f16 v92, v59, s33, v162
	v_fma_f16 v195, v54, s25, v194
	v_add_f16_e32 v90, v92, v90
	v_fma_f16 v92, v60, s19, -v163
	v_add_f16_e32 v191, v195, v191
	v_mul_f16_e32 v195, 0xbacd, v81
	v_add_f16_e32 v92, v92, v17
	v_fma_f16 v94, v61, s2, -v165
	v_fma_f16 v196, v55, s24, v195
	v_add_f16_e32 v92, v94, v92
	v_fma_f16 v94, v62, s17, -v166
	v_add_f16_e32 v191, v196, v191
	v_mul_f16_e32 v196, 0xb461, v83
	v_add_f16_e32 v92, v94, v92
	v_fma_f16 v94, v64, s4, -v167
	;; [unrolled: 7-line block ×4, first 2 shown]
	v_fma_f16 v199, v59, s15, v198
	v_add_f16_e32 v92, v94, v92
	v_fma_f16 v94, v51, s20, v172
	v_add_f16_e32 v191, v199, v191
	v_mul_f16_e32 v199, 0xb964, v89
	v_add_f16_sdwa v94, v94, v17 dst_sel:DWORD dst_unused:UNUSED_PAD src0_sel:DWORD src1_sel:WORD_1
	v_fma_f16 v96, v52, s27, v174
	v_fma_f16 v200, v60, s14, v199
	v_mul_f16_e32 v201, 0xbbf7, v91
	v_add_f16_e32 v94, v96, v94
	v_fma_f16 v96, v53, s25, v175
	v_add_f16_e32 v200, v200, v17
	v_fma_f16 v202, v61, s19, v201
	;; [unrolled: 2-line block ×3, first 2 shown]
	v_add_f16_e32 v200, v202, v200
	v_mul_f16_e32 v202, 0xba62, v93
	v_add_f16_e32 v94, v96, v94
	v_fma_f16 v96, v55, s33, v177
	v_fma_f16 v203, v62, s5, v202
	v_add_f16_e32 v94, v96, v94
	v_fma_f16 v96, v57, s15, v178
	v_add_f16_e32 v200, v203, v200
	v_mul_f16_e32 v203, 0xb1e1, v95
	v_add_f16_e32 v94, v96, v94
	v_fma_f16 v96, v58, s23, v179
	v_fma_f16 v204, v64, s2, v203
	v_add_f16_e32 v94, v96, v94
	v_fma_f16 v96, v59, s24, v180
	v_add_f16_e32 v200, v204, v200
	v_mul_f16_e32 v204, 0x3836, v97
	v_add_f16_e32 v94, v96, v94
	v_fma_f16 v96, v60, s16, -v181
	v_fma_f16 v205, v65, s3, v204
	v_add_f16_e32 v96, v96, v17
	v_fma_f16 v98, v61, s5, -v183
	v_add_f16_e32 v200, v205, v200
	v_mul_f16_e32 v205, 0x3bb2, v99
	v_add_f16_e32 v96, v98, v96
	v_fma_f16 v98, v62, s2, -v184
	v_fma_f16 v206, v66, s17, v205
	v_add_f16_e32 v96, v98, v96
	v_fma_f16 v98, v64, s17, -v185
	;; [unrolled: 7-line block ×3, first 2 shown]
	v_add_f16_e32 v200, v207, v200
	v_mul_f16_e32 v207, 0x35c8, v103
	v_add_f16_e32 v96, v98, v96
	v_fma_f16 v98, v67, s19, -v188
	v_fma_f16 v208, v68, s4, v207
	v_mul_f16_e32 v73, 0x3b76, v73
	v_add_f16_e32 v96, v98, v96
	v_fma_f16 v98, v68, s3, -v189
	v_add_f16_e32 v200, v208, v200
	v_fma_f16 v208, v51, s28, v73
	v_mul_f16_e32 v75, 0x39e9, v75
	v_add_f16_e32 v96, v98, v96
	v_fma_f16 v98, v51, s18, v190
	v_fma_f16 v51, v51, s15, v73
	v_add_f16_sdwa v208, v208, v17 dst_sel:DWORD dst_unused:UNUSED_PAD src0_sel:DWORD src1_sel:WORD_1
	v_fma_f16 v209, v52, s33, v75
	v_mul_f16_e32 v77, 0x3722, v77
	v_add_f16_sdwa v98, v98, v17 dst_sel:DWORD dst_unused:UNUSED_PAD src0_sel:DWORD src1_sel:WORD_1
	v_fma_f16 v100, v52, s23, v192
	v_add_f16_sdwa v51, v51, v17 dst_sel:DWORD dst_unused:UNUSED_PAD src0_sel:DWORD src1_sel:WORD_1
	v_fma_f16 v52, v52, s18, v75
	v_add_f16_e32 v208, v209, v208
	v_fma_f16 v209, v53, s30, v77
	v_mul_f16_e32 v79, 0x2de8, v79
	v_add_f16_e32 v98, v100, v98
	v_fma_f16 v100, v53, s27, v193
	v_add_f16_e32 v51, v52, v51
	v_fma_f16 v52, v53, s20, v77
	v_add_f16_e32 v208, v209, v208
	v_fma_f16 v209, v54, s34, v79
	v_mul_f16_e32 v81, 0xb461, v81
	v_add_f16_e32 v98, v100, v98
	v_fma_f16 v100, v54, s22, v194
	v_add_f16_e32 v51, v52, v51
	;; [unrolled: 7-line block ×6, first 2 shown]
	v_fma_f16 v52, v59, s22, v87
	v_add_f16_e32 v208, v209, v208
	v_fma_f16 v209, v60, s4, v89
	v_add_f16_e32 v98, v100, v98
	v_fma_f16 v100, v60, s14, -v199
	v_add_f16_e32 v51, v52, v51
	v_fma_f16 v52, v60, s4, -v89
	v_add_f16_e32 v209, v209, v17
	v_add_f16_e32 v100, v100, v17
	;; [unrolled: 1-line block ×3, first 2 shown]
	v_add_f16_sdwa v40, v40, v17 dst_sel:DWORD dst_unused:UNUSED_PAD src0_sel:DWORD src1_sel:WORD_1
	v_add_f16_e32 v17, v18, v17
	v_add_f16_e32 v40, v41, v40
	v_add_f16_e32 v17, v19, v17
	v_add_f16_e32 v40, v42, v40
	v_add_f16_e32 v17, v20, v17
	v_add_f16_e32 v40, v45, v40
	v_add_f16_e32 v17, v23, v17
	v_add_f16_e32 v40, v47, v40
	v_add_f16_e32 v17, v24, v17
	v_add_f16_e32 v40, v49, v40
	v_add_f16_e32 v17, v25, v17
	v_add_f16_e32 v40, v48, v40
	v_add_f16_e32 v17, v26, v17
	v_add_f16_e32 v40, v46, v40
	v_add_f16_e32 v17, v21, v17
	v_mul_f16_e32 v91, 0xb964, v91
	v_add_f16_e32 v40, v44, v40
	v_add_f16_e32 v17, v22, v17
	v_fma_f16 v210, v61, s14, v91
	v_mul_f16_e32 v93, 0xbb29, v93
	v_add_f16_e32 v40, v43, v40
	v_add_f16_e32 v13, v13, v17
	v_add_f16_e32 v209, v210, v209
	v_fma_f16 v210, v62, s16, v93
	v_mul_f16_e32 v95, 0xbbf7, v95
	v_add_f16_e32 v37, v37, v40
	;; [unrolled: 5-line block ×6, first 2 shown]
	v_add_f16_e32 v9, v10, v9
	v_add_f16_e32 v209, v210, v209
	v_fma_f16 v210, v68, s2, v103
	v_add_f16_sdwa v33, v33, v34 dst_sel:WORD_1 dst_unused:UNUSED_PAD src0_sel:DWORD src1_sel:DWORD
	v_add_f16_e32 v9, v32, v9
	v_add_f16_e32 v209, v210, v209
	v_fma_f16 v102, v61, s19, -v201
	v_fma_f16 v53, v61, s14, -v91
	v_or_b32_e32 v9, v33, v9
	v_lshl_add_u32 v10, v31, 2, v30
	v_add_f16_e32 v100, v102, v100
	v_fma_f16 v102, v62, s5, -v202
	v_add_f16_e32 v52, v53, v52
	v_fma_f16 v53, v62, s16, -v93
	ds_write_b32 v10, v9
	v_pack_b32_f16 v9, v200, v191
	v_pack_b32_f16 v11, v209, v208
	v_add_f16_e32 v100, v102, v100
	v_fma_f16 v102, v64, s2, -v203
	v_add_f16_e32 v52, v53, v52
	v_fma_f16 v53, v64, s19, -v95
	ds_write2_b32 v10, v11, v9 offset0:1 offset1:2
	v_pack_b32_f16 v9, v164, v155
	v_pack_b32_f16 v11, v182, v173
	v_add_f16_e32 v100, v102, v100
	v_fma_f16 v102, v65, s3, -v204
	v_add_f16_e32 v52, v53, v52
	v_fma_f16 v53, v65, s17, -v97
	ds_write2_b32 v10, v11, v9 offset0:3 offset1:4
	v_pack_b32_f16 v9, v71, v70
	v_pack_b32_f16 v11, v146, v72
	v_add_f16_e32 v100, v102, v100
	v_fma_f16 v102, v66, s17, -v205
	v_add_f16_e32 v52, v53, v52
	v_fma_f16 v53, v66, s5, -v99
	ds_write2_b32 v10, v11, v9 offset0:5 offset1:6
	v_pack_b32_f16 v9, v56, v50
	v_pack_b32_f16 v11, v69, v63
	v_add_f16_e32 v100, v102, v100
	v_fma_f16 v102, v67, s16, -v206
	v_add_f16_e32 v52, v53, v52
	v_fma_f16 v53, v67, s3, -v101
	ds_write2_b32 v10, v11, v9 offset0:7 offset1:8
	v_pack_b32_f16 v9, v80, v78
	v_pack_b32_f16 v11, v76, v74
	v_add_f16_e32 v100, v102, v100
	v_fma_f16 v102, v68, s4, -v207
	v_add_f16_e32 v52, v53, v52
	v_fma_f16 v53, v68, s2, -v103
	ds_write2_b32 v10, v11, v9 offset0:9 offset1:10
	v_pack_b32_f16 v9, v88, v86
	v_pack_b32_f16 v11, v84, v82
	v_add_f16_e32 v100, v102, v100
	v_add_f16_e32 v52, v53, v52
	ds_write2_b32 v10, v11, v9 offset0:11 offset1:12
	v_pack_b32_f16 v9, v96, v94
	v_pack_b32_f16 v11, v92, v90
	ds_write2_b32 v10, v11, v9 offset0:13 offset1:14
	v_pack_b32_f16 v9, v52, v51
	v_pack_b32_f16 v11, v100, v98
	ds_write2_b32 v10, v11, v9 offset0:15 offset1:16
.LBB0_13:
	s_or_b64 exec, exec, s[0:1]
	s_waitcnt lgkmcnt(0)
	s_barrier
	ds_read2_b32 v[9:10], v39 offset1:17
	ds_read2_b32 v[11:12], v39 offset0:34 offset1:51
	ds_read2_b32 v[13:14], v39 offset0:68 offset1:85
	;; [unrolled: 1-line block ×4, first 2 shown]
	s_waitcnt lgkmcnt(4)
	v_lshrrev_b32_e32 v21, 16, v10
	v_mul_f16_sdwa v35, v0, v21 dst_sel:DWORD dst_unused:UNUSED_PAD src0_sel:WORD_1 src1_sel:DWORD
	s_waitcnt lgkmcnt(3)
	v_lshrrev_b32_e32 v22, 16, v11
	v_fma_f16 v35, v0, v10, v35
	v_mul_f16_sdwa v10, v0, v10 dst_sel:DWORD dst_unused:UNUSED_PAD src0_sel:WORD_1 src1_sel:DWORD
	v_fma_f16 v0, v0, v21, -v10
	v_mul_f16_sdwa v10, v1, v22 dst_sel:DWORD dst_unused:UNUSED_PAD src0_sel:WORD_1 src1_sel:DWORD
	v_lshrrev_b32_e32 v23, 16, v12
	v_fma_f16 v10, v1, v11, v10
	v_mul_f16_sdwa v11, v1, v11 dst_sel:DWORD dst_unused:UNUSED_PAD src0_sel:WORD_1 src1_sel:DWORD
	v_fma_f16 v1, v1, v22, -v11
	v_mul_f16_sdwa v11, v2, v23 dst_sel:DWORD dst_unused:UNUSED_PAD src0_sel:WORD_1 src1_sel:DWORD
	s_waitcnt lgkmcnt(2)
	v_lshrrev_b32_e32 v24, 16, v13
	v_fma_f16 v11, v2, v12, v11
	v_mul_f16_sdwa v12, v2, v12 dst_sel:DWORD dst_unused:UNUSED_PAD src0_sel:WORD_1 src1_sel:DWORD
	v_fma_f16 v2, v2, v23, -v12
	v_mul_f16_sdwa v12, v3, v24 dst_sel:DWORD dst_unused:UNUSED_PAD src0_sel:WORD_1 src1_sel:DWORD
	v_lshrrev_b32_e32 v25, 16, v14
	v_fma_f16 v12, v3, v13, v12
	v_mul_f16_sdwa v13, v3, v13 dst_sel:DWORD dst_unused:UNUSED_PAD src0_sel:WORD_1 src1_sel:DWORD
	v_fma_f16 v3, v3, v24, -v13
	v_mul_f16_sdwa v13, v4, v25 dst_sel:DWORD dst_unused:UNUSED_PAD src0_sel:WORD_1 src1_sel:DWORD
	s_waitcnt lgkmcnt(1)
	v_lshrrev_b32_e32 v30, 16, v17
	v_fma_f16 v13, v4, v14, v13
	v_mul_f16_sdwa v14, v4, v14 dst_sel:DWORD dst_unused:UNUSED_PAD src0_sel:WORD_1 src1_sel:DWORD
	v_fma_f16 v4, v4, v25, -v14
	v_mul_f16_sdwa v14, v5, v30 dst_sel:DWORD dst_unused:UNUSED_PAD src0_sel:WORD_1 src1_sel:DWORD
	v_lshrrev_b32_e32 v31, 16, v18
	v_fma_f16 v14, v5, v17, v14
	v_mul_f16_sdwa v17, v5, v17 dst_sel:DWORD dst_unused:UNUSED_PAD src0_sel:WORD_1 src1_sel:DWORD
	ds_read_b32 v26, v39 offset:680
	v_fma_f16 v5, v5, v30, -v17
	v_mul_f16_sdwa v17, v6, v31 dst_sel:DWORD dst_unused:UNUSED_PAD src0_sel:WORD_1 src1_sel:DWORD
	s_waitcnt lgkmcnt(1)
	v_lshrrev_b32_e32 v32, 16, v19
	v_fma_f16 v17, v6, v18, v17
	v_mul_f16_sdwa v18, v6, v18 dst_sel:DWORD dst_unused:UNUSED_PAD src0_sel:WORD_1 src1_sel:DWORD
	v_fma_f16 v6, v6, v31, -v18
	v_mul_f16_sdwa v18, v7, v32 dst_sel:DWORD dst_unused:UNUSED_PAD src0_sel:WORD_1 src1_sel:DWORD
	v_lshrrev_b32_e32 v33, 16, v20
	v_fma_f16 v18, v7, v19, v18
	v_mul_f16_sdwa v19, v7, v19 dst_sel:DWORD dst_unused:UNUSED_PAD src0_sel:WORD_1 src1_sel:DWORD
	v_fma_f16 v7, v7, v32, -v19
	v_mul_f16_sdwa v19, v15, v33 dst_sel:DWORD dst_unused:UNUSED_PAD src0_sel:WORD_1 src1_sel:DWORD
	s_waitcnt lgkmcnt(0)
	v_lshrrev_b32_e32 v34, 16, v26
	v_fma_f16 v19, v15, v20, v19
	v_mul_f16_sdwa v20, v15, v20 dst_sel:DWORD dst_unused:UNUSED_PAD src0_sel:WORD_1 src1_sel:DWORD
	v_fma_f16 v15, v15, v33, -v20
	v_mul_f16_sdwa v20, v16, v34 dst_sel:DWORD dst_unused:UNUSED_PAD src0_sel:WORD_1 src1_sel:DWORD
	v_mul_f16_sdwa v21, v16, v26 dst_sel:DWORD dst_unused:UNUSED_PAD src0_sel:WORD_1 src1_sel:DWORD
	v_fma_f16 v20, v16, v26, v20
	v_fma_f16 v16, v16, v34, -v21
	v_add_f16_e32 v21, v35, v9
	v_add_f16_sdwa v22, v0, v9 dst_sel:DWORD dst_unused:UNUSED_PAD src0_sel:DWORD src1_sel:WORD_1
	v_add_f16_e32 v21, v21, v10
	v_add_f16_e32 v22, v22, v1
	;; [unrolled: 1-line block ×17, first 2 shown]
	v_add_f16_sdwa v22, v22, v16 dst_sel:WORD_1 dst_unused:UNUSED_PAD src0_sel:DWORD src1_sel:DWORD
	v_add_f16_e32 v23, v0, v16
	v_sub_f16_e32 v0, v0, v16
	v_or_b32_e32 v21, v22, v21
	v_add_f16_e32 v22, v35, v20
	v_sub_f16_e32 v20, v35, v20
	s_mov_b32 s5, 0xb853
	v_mul_f16_e32 v16, 0xb853, v0
	s_movk_i32 s14, 0x3abb
	v_mul_f16_e32 v25, 0x3abb, v23
	s_movk_i32 s15, 0x3853
	s_mov_b32 s1, 0xbb47
	v_mul_f16_e32 v30, 0xbb47, v0
	s_movk_i32 s2, 0x36a6
	v_mul_f16_e32 v32, 0x36a6, v23
	s_movk_i32 s3, 0x3b47
	s_mov_b32 s0, 0xbbeb
	v_mul_f16_e32 v34, 0xbbeb, v0
	s_mov_b32 s4, 0xb08e
	v_mul_f16_e32 v36, 0xb08e, v23
	s_movk_i32 s16, 0x3beb
	s_mov_b32 s17, 0xba0c
	v_mul_f16_e32 v38, 0xba0c, v0
	s_mov_b32 s18, 0xb93d
	;; [unrolled: 5-line block ×3, first 2 shown]
	v_mul_f16_e32 v23, 0xbbad, v23
	s_movk_i32 s22, 0x3482
	v_fma_f16 v24, v22, s14, v16
	v_fma_f16 v26, v20, s15, v25
	v_fma_f16 v16, v22, s14, -v16
	v_fma_f16 v25, v20, s5, v25
	v_fma_f16 v31, v22, s2, v30
	v_fma_f16 v33, v20, s3, v32
	v_fma_f16 v30, v22, s2, -v30
	v_fma_f16 v32, v20, s1, v32
	;; [unrolled: 4-line block ×5, first 2 shown]
	v_add_f16_e32 v22, v1, v15
	v_sub_f16_e32 v1, v1, v15
	v_add_f16_e32 v24, v24, v9
	v_add_f16_sdwa v26, v26, v9 dst_sel:DWORD dst_unused:UNUSED_PAD src0_sel:DWORD src1_sel:WORD_1
	v_add_f16_e32 v16, v16, v9
	v_add_f16_sdwa v25, v25, v9 dst_sel:DWORD dst_unused:UNUSED_PAD src0_sel:DWORD src1_sel:WORD_1
	;; [unrolled: 2-line block ×10, first 2 shown]
	v_add_f16_e32 v20, v10, v19
	v_mul_f16_e32 v15, 0xbb47, v1
	v_sub_f16_e32 v10, v10, v19
	v_fma_f16 v19, v20, s2, v15
	v_mul_f16_e32 v23, 0x36a6, v22
	v_fma_f16 v15, v20, s2, -v15
	v_add_f16_e32 v19, v19, v24
	v_fma_f16 v24, v10, s3, v23
	v_add_f16_e32 v15, v15, v16
	v_fma_f16 v16, v10, s1, v23
	v_mul_f16_e32 v23, 0xba0c, v1
	v_add_f16_e32 v24, v24, v26
	v_add_f16_e32 v16, v16, v25
	v_fma_f16 v25, v20, s18, v23
	v_mul_f16_e32 v26, 0xb93d, v22
	v_fma_f16 v23, v20, s18, -v23
	v_add_f16_e32 v25, v25, v31
	v_fma_f16 v31, v10, s19, v26
	v_add_f16_e32 v23, v23, v30
	v_fma_f16 v26, v10, s17, v26
	v_mul_f16_e32 v30, 0x3482, v1
	v_add_f16_e32 v31, v31, v33
	v_add_f16_e32 v26, v26, v32
	;; [unrolled: 10-line block ×3, first 2 shown]
	v_fma_f16 v36, v20, s4, v34
	v_mul_f16_e32 v37, 0xb08e, v22
	v_fma_f16 v34, v20, s4, -v34
	v_mul_f16_e32 v1, 0x3853, v1
	v_add_f16_e32 v36, v36, v39
	v_fma_f16 v39, v10, s0, v37
	v_add_f16_e32 v34, v34, v38
	v_fma_f16 v37, v10, s16, v37
	v_fma_f16 v38, v20, s14, v1
	v_mul_f16_e32 v22, 0x3abb, v22
	v_fma_f16 v1, v20, s14, -v1
	v_add_f16_e32 v37, v37, v40
	v_fma_f16 v40, v10, s5, v22
	v_add_f16_e32 v0, v1, v0
	v_fma_f16 v1, v10, s15, v22
	v_add_f16_e32 v10, v2, v7
	v_sub_f16_e32 v2, v2, v7
	v_add_f16_e32 v1, v1, v9
	v_add_f16_e32 v9, v11, v18
	v_mul_f16_e32 v7, 0xbbeb, v2
	v_sub_f16_e32 v11, v11, v18
	v_fma_f16 v18, v9, s4, v7
	v_add_f16_e32 v18, v18, v19
	v_mul_f16_e32 v19, 0xb08e, v10
	v_fma_f16 v7, v9, s4, -v7
	v_add_f16_e32 v7, v7, v15
	v_fma_f16 v15, v11, s0, v19
	v_add_f16_e32 v15, v15, v16
	v_mul_f16_e32 v16, 0x3482, v2
	v_fma_f16 v20, v11, s16, v19
	v_fma_f16 v19, v9, s21, v16
	v_fma_f16 v16, v9, s21, -v16
	v_mul_f16_e32 v22, 0xbbad, v10
	v_add_f16_e32 v16, v16, v23
	v_mul_f16_e32 v23, 0x3b47, v2
	v_add_f16_e32 v20, v20, v24
	v_add_f16_e32 v19, v19, v25
	v_fma_f16 v24, v11, s20, v22
	v_fma_f16 v22, v11, s22, v22
	;; [unrolled: 1-line block ×3, first 2 shown]
	v_fma_f16 v23, v9, s2, -v23
	v_add_f16_e32 v22, v22, v26
	v_mul_f16_e32 v26, 0x36a6, v10
	v_add_f16_e32 v23, v23, v30
	v_mul_f16_e32 v30, 0xb853, v2
	v_add_f16_e32 v24, v24, v31
	v_add_f16_e32 v25, v25, v32
	v_fma_f16 v31, v11, s1, v26
	v_fma_f16 v26, v11, s3, v26
	;; [unrolled: 1-line block ×3, first 2 shown]
	v_fma_f16 v30, v9, s14, -v30
	v_mul_f16_e32 v2, 0xba0c, v2
	v_add_f16_e32 v26, v26, v33
	v_mul_f16_e32 v33, 0x3abb, v10
	v_add_f16_e32 v30, v30, v34
	v_fma_f16 v34, v9, s18, v2
	v_mul_f16_e32 v10, 0xb93d, v10
	v_fma_f16 v2, v9, s18, -v2
	v_add_f16_e32 v0, v2, v0
	v_fma_f16 v2, v11, s17, v10
	v_add_f16_e32 v9, v3, v6
	v_sub_f16_e32 v3, v3, v6
	v_add_f16_e32 v1, v2, v1
	v_add_f16_e32 v2, v12, v17
	v_mul_f16_e32 v6, 0xba0c, v3
	v_add_f16_e32 v31, v31, v35
	v_add_f16_e32 v32, v32, v36
	v_fma_f16 v35, v11, s15, v33
	v_fma_f16 v33, v11, s5, v33
	;; [unrolled: 1-line block ×3, first 2 shown]
	v_sub_f16_e32 v10, v12, v17
	v_fma_f16 v11, v2, s18, v6
	v_mul_f16_e32 v12, 0xb93d, v9
	v_fma_f16 v6, v2, s18, -v6
	v_fma_f16 v17, v10, s19, v12
	v_add_f16_e32 v6, v6, v7
	v_fma_f16 v7, v10, s17, v12
	v_mul_f16_e32 v12, 0x3beb, v3
	v_add_f16_e32 v11, v11, v18
	v_add_f16_e32 v7, v7, v15
	v_fma_f16 v15, v2, s4, v12
	v_mul_f16_e32 v18, 0xb08e, v9
	v_fma_f16 v12, v2, s4, -v12
	v_add_f16_e32 v15, v15, v19
	v_fma_f16 v19, v10, s0, v18
	v_add_f16_e32 v12, v12, v16
	v_fma_f16 v16, v10, s16, v18
	v_mul_f16_e32 v18, 0xb853, v3
	v_add_f16_e32 v17, v17, v20
	v_fma_f16 v20, v2, s14, v18
	v_fma_f16 v18, v2, s14, -v18
	v_add_f16_e32 v16, v16, v22
	v_mul_f16_e32 v22, 0x3abb, v9
	v_add_f16_e32 v18, v18, v23
	v_mul_f16_e32 v23, 0xb482, v3
	v_add_f16_e32 v19, v19, v24
	v_add_f16_e32 v20, v20, v25
	v_fma_f16 v24, v10, s15, v22
	v_fma_f16 v22, v10, s5, v22
	;; [unrolled: 1-line block ×3, first 2 shown]
	v_fma_f16 v23, v2, s21, -v23
	v_mul_f16_e32 v3, 0x3b47, v3
	v_add_f16_e32 v22, v22, v26
	v_mul_f16_e32 v26, 0xbbad, v9
	v_add_f16_e32 v23, v23, v30
	v_fma_f16 v30, v2, s2, v3
	v_mul_f16_e32 v9, 0x36a6, v9
	v_fma_f16 v2, v2, s2, -v3
	v_add_f16_e32 v0, v2, v0
	v_fma_f16 v2, v10, s3, v9
	v_add_f16_e32 v3, v4, v5
	v_sub_f16_e32 v4, v4, v5
	v_add_f16_e32 v1, v2, v1
	v_add_f16_e32 v2, v13, v14
	v_mul_f16_e32 v5, 0xb482, v4
	v_add_f16_e32 v24, v24, v31
	v_add_f16_e32 v25, v25, v32
	v_fma_f16 v31, v10, s22, v26
	v_fma_f16 v26, v10, s20, v26
	;; [unrolled: 1-line block ×4, first 2 shown]
	v_sub_f16_e32 v9, v13, v14
	v_add_f16_e32 v10, v10, v11
	v_mul_f16_e32 v11, 0xbbad, v3
	v_fma_f16 v5, v2, s21, -v5
	v_add_f16_e32 v5, v5, v6
	v_fma_f16 v6, v9, s20, v11
	v_add_f16_e32 v6, v6, v7
	v_mul_f16_e32 v7, 0x3853, v4
	v_fma_f16 v13, v9, s22, v11
	v_fma_f16 v11, v2, s14, v7
	v_mul_f16_e32 v14, 0x3abb, v3
	v_fma_f16 v7, v2, s14, -v7
	v_add_f16_e32 v11, v11, v15
	v_fma_f16 v15, v9, s5, v14
	v_add_f16_e32 v7, v7, v12
	v_fma_f16 v12, v9, s15, v14
	v_mul_f16_e32 v14, 0xba0c, v4
	v_add_f16_e32 v12, v12, v16
	v_fma_f16 v16, v2, s18, v14
	v_fma_f16 v14, v2, s18, -v14
	v_add_f16_e32 v13, v13, v17
	v_mul_f16_e32 v17, 0xb93d, v3
	v_add_f16_e32 v14, v14, v18
	v_mul_f16_e32 v18, 0x3b47, v4
	v_add_f16_e32 v15, v15, v19
	v_add_f16_e32 v16, v16, v20
	v_fma_f16 v19, v9, s19, v17
	v_fma_f16 v17, v9, s17, v17
	;; [unrolled: 1-line block ×3, first 2 shown]
	v_fma_f16 v18, v2, s2, -v18
	v_mul_f16_e32 v4, 0xbbeb, v4
	v_add_f16_e32 v33, v33, v37
	v_add_f16_e32 v17, v17, v22
	v_mul_f16_e32 v22, 0x36a6, v3
	v_add_f16_e32 v18, v18, v23
	v_fma_f16 v23, v2, s4, v4
	v_mul_f16_e32 v3, 0xb08e, v3
	v_fma_f16 v2, v2, s4, -v4
	v_add_f16_e32 v39, v39, v41
	v_add_f16_e32 v38, v38, v42
	;; [unrolled: 1-line block ×5, first 2 shown]
	v_fma_f16 v24, v9, s1, v22
	v_fma_f16 v22, v9, s3, v22
	v_add_f16_e32 v0, v2, v0
	v_fma_f16 v2, v9, s0, v3
	v_add_f16_e32 v35, v35, v39
	v_add_f16_e32 v34, v34, v38
	;; [unrolled: 1-line block ×9, first 2 shown]
	v_fma_f16 v25, v9, s16, v3
	v_pack_b32_f16 v2, v10, v13
	v_pack_b32_f16 v0, v0, v1
	;; [unrolled: 1-line block ×3, first 2 shown]
	v_add_f16_e32 v24, v24, v31
	v_add_f16_e32 v23, v23, v30
	;; [unrolled: 1-line block ×3, first 2 shown]
	ds_write2_b32 v29, v21, v2 offset1:17
	v_pack_b32_f16 v2, v11, v15
	v_pack_b32_f16 v3, v16, v19
	ds_write2_b32 v29, v0, v1 offset0:102 offset1:119
	v_pack_b32_f16 v0, v14, v17
	v_pack_b32_f16 v1, v7, v12
	ds_write2_b32 v29, v2, v3 offset0:34 offset1:51
	;; [unrolled: 3-line block ×3, first 2 shown]
	v_pack_b32_f16 v0, v5, v6
	ds_write2_b32 v29, v2, v3 offset0:68 offset1:85
	ds_write_b32 v29, v0 offset:680
	s_waitcnt lgkmcnt(0)
	s_barrier
	s_and_b64 exec, exec, vcc
	s_cbranch_execz .LBB0_15
; %bb.14:
	global_load_dword v9, v28, s[6:7]
	v_mad_u64_u32 v[1:2], s[0:1], s10, v8, 0
	v_mad_u64_u32 v[3:4], s[0:1], s8, v27, 0
	ds_read_b32 v10, v29
	s_mov_b32 s14, 0xb8d015e7
	v_mad_u64_u32 v[5:6], s[0:1], s11, v8, v[2:3]
	s_mov_b32 s15, 0x3f75e75b
	v_mov_b32_e32 v11, s13
	v_mad_u64_u32 v[6:7], s[0:1], s9, v27, v[4:5]
	s_waitcnt lgkmcnt(0)
	v_lshrrev_b32_e32 v7, 16, v10
	v_mov_b32_e32 v2, v5
	v_mov_b32_e32 v4, v6
	v_lshlrev_b64 v[1:2], 2, v[1:2]
	v_lshlrev_b64 v[3:4], 2, v[3:4]
	v_add_co_u32_e32 v1, vcc, s12, v1
	v_addc_co_u32_e32 v2, vcc, v11, v2, vcc
	s_movk_i32 s16, 0x1ff
	v_add_co_u32_e32 v3, vcc, v1, v3
	v_addc_co_u32_e32 v4, vcc, v2, v4, vcc
	s_movk_i32 s10, 0xffe
	v_mov_b32_e32 v0, 0x7c00
	s_movk_i32 s18, 0x40f
	s_mov_b32 s17, 0x8000
	s_mul_hi_u32 s12, s8, 44
	s_mul_i32 s11, s8, 44
	s_waitcnt vmcnt(0)
	v_mul_f16_sdwa v5, v7, v9 dst_sel:DWORD dst_unused:UNUSED_PAD src0_sel:DWORD src1_sel:WORD_1
	v_fma_f16 v5, v10, v9, v5
	v_mul_f16_sdwa v6, v10, v9 dst_sel:DWORD dst_unused:UNUSED_PAD src0_sel:DWORD src1_sel:WORD_1
	v_cvt_f32_f16_e32 v5, v5
	v_fma_f16 v6, v9, v7, -v6
	v_cvt_f32_f16_e32 v7, v6
	v_cvt_f64_f32_e32 v[5:6], v5
	v_cvt_f64_f32_e32 v[7:8], v7
	v_mul_f64 v[5:6], v[5:6], s[14:15]
	v_mul_f64 v[7:8], v[7:8], s[14:15]
	v_and_or_b32 v5, v6, s16, v5
	v_cmp_ne_u32_e32 vcc, 0, v5
	v_and_or_b32 v7, v8, s16, v7
	v_lshrrev_b32_e32 v9, 8, v6
	v_bfe_u32 v10, v6, 20, 11
	v_cndmask_b32_e64 v5, 0, 1, vcc
	v_cmp_ne_u32_e32 vcc, 0, v7
	v_lshrrev_b32_e32 v11, 8, v8
	v_bfe_u32 v12, v8, 20, 11
	v_sub_u32_e32 v13, 0x3f1, v10
	v_cndmask_b32_e64 v7, 0, 1, vcc
	v_and_or_b32 v5, v9, s10, v5
	v_sub_u32_e32 v14, 0x3f1, v12
	v_med3_i32 v9, v13, 0, 13
	v_and_or_b32 v7, v11, s10, v7
	v_or_b32_e32 v13, 0x1000, v5
	v_add_u32_e32 v10, 0xfffffc10, v10
	v_med3_i32 v11, v14, 0, 13
	v_cmp_ne_u32_e32 vcc, 0, v5
	v_or_b32_e32 v15, 0x1000, v7
	v_lshrrev_b32_e32 v17, v9, v13
	v_add_u32_e32 v12, 0xfffffc10, v12
	v_lshl_or_b32 v14, v10, 12, v5
	v_cndmask_b32_e64 v5, 0, 1, vcc
	v_cmp_ne_u32_e32 vcc, 0, v7
	v_lshrrev_b32_e32 v18, v11, v15
	v_lshlrev_b32_e32 v9, v9, v17
	v_lshl_or_b32 v16, v12, 12, v7
	v_cndmask_b32_e64 v7, 0, 1, vcc
	v_lshlrev_b32_e32 v11, v11, v18
	v_cmp_ne_u32_e32 vcc, v9, v13
	v_cndmask_b32_e64 v9, 0, 1, vcc
	v_cmp_ne_u32_e32 vcc, v11, v15
	v_cndmask_b32_e64 v11, 0, 1, vcc
	v_or_b32_e32 v9, v17, v9
	v_cmp_gt_i32_e32 vcc, 1, v10
	v_cndmask_b32_e32 v9, v14, v9, vcc
	v_or_b32_e32 v11, v18, v11
	v_cmp_gt_i32_e32 vcc, 1, v12
	v_and_b32_e32 v13, 7, v9
	v_cndmask_b32_e32 v11, v16, v11, vcc
	v_cmp_lt_i32_e32 vcc, 5, v13
	v_cmp_eq_u32_e64 s[0:1], 3, v13
	v_lshrrev_b32_e32 v9, 2, v9
	v_and_b32_e32 v14, 7, v11
	s_or_b64 vcc, s[0:1], vcc
	v_cmp_lt_i32_e64 s[2:3], 5, v14
	v_cmp_eq_u32_e64 s[4:5], 3, v14
	v_addc_co_u32_e32 v9, vcc, 0, v9, vcc
	v_lshrrev_b32_e32 v11, 2, v11
	s_or_b64 vcc, s[4:5], s[2:3]
	v_addc_co_u32_e32 v11, vcc, 0, v11, vcc
	v_cmp_gt_i32_e32 vcc, 31, v10
	v_cndmask_b32_e32 v9, v0, v9, vcc
	v_cmp_gt_i32_e32 vcc, 31, v12
	v_lshl_or_b32 v5, v5, 9, v0
	v_cndmask_b32_e32 v11, v0, v11, vcc
	v_cmp_eq_u32_e32 vcc, s18, v10
	v_lshrrev_b32_e32 v6, 16, v6
	v_lshl_or_b32 v7, v7, 9, v0
	v_cndmask_b32_e32 v5, v9, v5, vcc
	v_cmp_eq_u32_e32 vcc, s18, v12
	v_lshrrev_b32_e32 v8, 16, v8
	v_cndmask_b32_e32 v7, v11, v7, vcc
	v_and_or_b32 v5, v6, s17, v5
	v_and_or_b32 v6, v8, s17, v7
	v_and_b32_e32 v5, 0xffff, v5
	v_lshl_or_b32 v5, v6, 16, v5
	global_store_dword v[3:4], v5, off
	global_load_dword v7, v28, s[6:7] offset:44
	ds_read2_b32 v[5:6], v29 offset0:11 offset1:22
	s_mul_i32 s0, s9, 44
	s_add_i32 s12, s12, s0
	v_add_co_u32_e32 v3, vcc, s11, v3
	s_waitcnt lgkmcnt(0)
	v_lshrrev_b32_e32 v8, 16, v5
	s_waitcnt vmcnt(0)
	v_mul_f16_sdwa v9, v8, v7 dst_sel:DWORD dst_unused:UNUSED_PAD src0_sel:DWORD src1_sel:WORD_1
	v_fma_f16 v9, v5, v7, v9
	v_mul_f16_sdwa v5, v5, v7 dst_sel:DWORD dst_unused:UNUSED_PAD src0_sel:DWORD src1_sel:WORD_1
	v_cvt_f32_f16_e32 v9, v9
	v_fma_f16 v5, v7, v8, -v5
	v_cvt_f32_f16_e32 v5, v5
	v_cvt_f64_f32_e32 v[7:8], v9
	v_cvt_f64_f32_e32 v[9:10], v5
	v_mov_b32_e32 v5, s12
	v_mul_f64 v[7:8], v[7:8], s[14:15]
	v_addc_co_u32_e32 v4, vcc, v4, v5, vcc
	v_mul_f64 v[9:10], v[9:10], s[14:15]
	v_and_or_b32 v5, v8, s16, v7
	v_cmp_ne_u32_e32 vcc, 0, v5
	v_lshrrev_b32_e32 v7, 8, v8
	v_and_or_b32 v9, v10, s16, v9
	v_bfe_u32 v11, v8, 20, 11
	v_cndmask_b32_e64 v5, 0, 1, vcc
	v_cmp_ne_u32_e32 vcc, 0, v9
	v_lshrrev_b32_e32 v12, 8, v10
	v_bfe_u32 v13, v10, 20, 11
	v_sub_u32_e32 v14, 0x3f1, v11
	v_cndmask_b32_e64 v9, 0, 1, vcc
	v_and_or_b32 v5, v7, s10, v5
	v_sub_u32_e32 v15, 0x3f1, v13
	v_med3_i32 v7, v14, 0, 13
	v_and_or_b32 v9, v12, s10, v9
	v_or_b32_e32 v14, 0x1000, v5
	v_add_u32_e32 v11, 0xfffffc10, v11
	v_med3_i32 v12, v15, 0, 13
	v_cmp_ne_u32_e32 vcc, 0, v5
	v_or_b32_e32 v16, 0x1000, v9
	v_lshrrev_b32_e32 v18, v7, v14
	v_add_u32_e32 v13, 0xfffffc10, v13
	v_lshl_or_b32 v15, v11, 12, v5
	v_cndmask_b32_e64 v5, 0, 1, vcc
	v_cmp_ne_u32_e32 vcc, 0, v9
	v_lshrrev_b32_e32 v19, v12, v16
	v_lshlrev_b32_e32 v7, v7, v18
	v_lshl_or_b32 v17, v13, 12, v9
	v_cndmask_b32_e64 v9, 0, 1, vcc
	v_lshlrev_b32_e32 v12, v12, v19
	v_cmp_ne_u32_e32 vcc, v7, v14
	v_cndmask_b32_e64 v7, 0, 1, vcc
	v_cmp_ne_u32_e32 vcc, v12, v16
	v_cndmask_b32_e64 v12, 0, 1, vcc
	v_or_b32_e32 v7, v18, v7
	v_cmp_gt_i32_e32 vcc, 1, v11
	v_cndmask_b32_e32 v7, v15, v7, vcc
	v_or_b32_e32 v12, v19, v12
	v_cmp_gt_i32_e32 vcc, 1, v13
	v_and_b32_e32 v14, 7, v7
	v_cndmask_b32_e32 v12, v17, v12, vcc
	v_cmp_lt_i32_e32 vcc, 5, v14
	v_cmp_eq_u32_e64 s[0:1], 3, v14
	v_lshrrev_b32_e32 v7, 2, v7
	v_and_b32_e32 v15, 7, v12
	s_or_b64 vcc, s[0:1], vcc
	v_cmp_lt_i32_e64 s[2:3], 5, v15
	v_cmp_eq_u32_e64 s[4:5], 3, v15
	v_addc_co_u32_e32 v7, vcc, 0, v7, vcc
	v_lshrrev_b32_e32 v12, 2, v12
	s_or_b64 vcc, s[4:5], s[2:3]
	v_addc_co_u32_e32 v12, vcc, 0, v12, vcc
	v_cmp_gt_i32_e32 vcc, 31, v11
	v_cndmask_b32_e32 v7, v0, v7, vcc
	v_cmp_gt_i32_e32 vcc, 31, v13
	v_lshl_or_b32 v5, v5, 9, v0
	v_cndmask_b32_e32 v12, v0, v12, vcc
	v_cmp_eq_u32_e32 vcc, s18, v11
	v_lshrrev_b32_e32 v8, 16, v8
	v_lshl_or_b32 v9, v9, 9, v0
	v_cndmask_b32_e32 v5, v7, v5, vcc
	v_cmp_eq_u32_e32 vcc, s18, v13
	v_lshrrev_b32_e32 v10, 16, v10
	v_cndmask_b32_e32 v7, v12, v9, vcc
	v_and_or_b32 v5, v8, s17, v5
	v_and_or_b32 v7, v10, s17, v7
	v_and_b32_e32 v5, 0xffff, v5
	v_lshl_or_b32 v5, v7, 16, v5
	global_store_dword v[3:4], v5, off
	global_load_dword v5, v28, s[6:7] offset:88
	v_lshrrev_b32_e32 v7, 16, v6
	v_mov_b32_e32 v9, s12
	v_add_co_u32_e32 v3, vcc, s11, v3
	v_addc_co_u32_e32 v4, vcc, v4, v9, vcc
	s_waitcnt vmcnt(0)
	v_mul_f16_sdwa v8, v7, v5 dst_sel:DWORD dst_unused:UNUSED_PAD src0_sel:DWORD src1_sel:WORD_1
	v_fma_f16 v8, v6, v5, v8
	v_mul_f16_sdwa v6, v6, v5 dst_sel:DWORD dst_unused:UNUSED_PAD src0_sel:DWORD src1_sel:WORD_1
	v_cvt_f32_f16_e32 v8, v8
	v_fma_f16 v5, v5, v7, -v6
	v_cvt_f32_f16_e32 v7, v5
	v_cvt_f64_f32_e32 v[5:6], v8
	v_cvt_f64_f32_e32 v[7:8], v7
	v_mul_f64 v[5:6], v[5:6], s[14:15]
	v_mul_f64 v[7:8], v[7:8], s[14:15]
	v_and_or_b32 v5, v6, s16, v5
	v_cmp_ne_u32_e32 vcc, 0, v5
	v_and_or_b32 v7, v8, s16, v7
	v_lshrrev_b32_e32 v9, 8, v6
	v_bfe_u32 v10, v6, 20, 11
	v_cndmask_b32_e64 v5, 0, 1, vcc
	v_cmp_ne_u32_e32 vcc, 0, v7
	v_lshrrev_b32_e32 v11, 8, v8
	v_bfe_u32 v12, v8, 20, 11
	v_sub_u32_e32 v13, 0x3f1, v10
	v_cndmask_b32_e64 v7, 0, 1, vcc
	v_and_or_b32 v5, v9, s10, v5
	v_sub_u32_e32 v14, 0x3f1, v12
	v_med3_i32 v9, v13, 0, 13
	v_and_or_b32 v7, v11, s10, v7
	v_or_b32_e32 v13, 0x1000, v5
	v_add_u32_e32 v10, 0xfffffc10, v10
	v_med3_i32 v11, v14, 0, 13
	v_cmp_ne_u32_e32 vcc, 0, v5
	v_or_b32_e32 v15, 0x1000, v7
	v_lshrrev_b32_e32 v17, v9, v13
	v_add_u32_e32 v12, 0xfffffc10, v12
	v_lshl_or_b32 v14, v10, 12, v5
	v_cndmask_b32_e64 v5, 0, 1, vcc
	v_cmp_ne_u32_e32 vcc, 0, v7
	v_lshrrev_b32_e32 v18, v11, v15
	v_lshlrev_b32_e32 v9, v9, v17
	v_lshl_or_b32 v16, v12, 12, v7
	v_cndmask_b32_e64 v7, 0, 1, vcc
	v_lshlrev_b32_e32 v11, v11, v18
	v_cmp_ne_u32_e32 vcc, v9, v13
	v_cndmask_b32_e64 v9, 0, 1, vcc
	v_cmp_ne_u32_e32 vcc, v11, v15
	v_cndmask_b32_e64 v11, 0, 1, vcc
	v_or_b32_e32 v9, v17, v9
	v_cmp_gt_i32_e32 vcc, 1, v10
	v_cndmask_b32_e32 v9, v14, v9, vcc
	v_or_b32_e32 v11, v18, v11
	v_cmp_gt_i32_e32 vcc, 1, v12
	v_and_b32_e32 v13, 7, v9
	v_cndmask_b32_e32 v11, v16, v11, vcc
	v_cmp_lt_i32_e32 vcc, 5, v13
	v_cmp_eq_u32_e64 s[0:1], 3, v13
	v_lshrrev_b32_e32 v9, 2, v9
	v_and_b32_e32 v14, 7, v11
	s_or_b64 vcc, s[0:1], vcc
	v_cmp_lt_i32_e64 s[2:3], 5, v14
	v_cmp_eq_u32_e64 s[4:5], 3, v14
	v_addc_co_u32_e32 v9, vcc, 0, v9, vcc
	v_lshrrev_b32_e32 v11, 2, v11
	s_or_b64 vcc, s[4:5], s[2:3]
	v_addc_co_u32_e32 v11, vcc, 0, v11, vcc
	v_cmp_gt_i32_e32 vcc, 31, v10
	v_cndmask_b32_e32 v9, v0, v9, vcc
	v_cmp_gt_i32_e32 vcc, 31, v12
	v_lshl_or_b32 v5, v5, 9, v0
	v_cndmask_b32_e32 v11, v0, v11, vcc
	v_cmp_eq_u32_e32 vcc, s18, v10
	v_lshrrev_b32_e32 v6, 16, v6
	v_lshl_or_b32 v7, v7, 9, v0
	v_cndmask_b32_e32 v5, v9, v5, vcc
	v_cmp_eq_u32_e32 vcc, s18, v12
	v_lshrrev_b32_e32 v8, 16, v8
	v_cndmask_b32_e32 v7, v11, v7, vcc
	v_and_or_b32 v5, v6, s17, v5
	v_and_or_b32 v6, v8, s17, v7
	v_and_b32_e32 v5, 0xffff, v5
	v_lshl_or_b32 v5, v6, 16, v5
	global_store_dword v[3:4], v5, off
	global_load_dword v7, v28, s[6:7] offset:132
	ds_read2_b32 v[5:6], v29 offset0:33 offset1:44
	v_add_co_u32_e32 v3, vcc, s11, v3
	s_waitcnt lgkmcnt(0)
	v_lshrrev_b32_e32 v8, 16, v5
	s_waitcnt vmcnt(0)
	v_mul_f16_sdwa v9, v8, v7 dst_sel:DWORD dst_unused:UNUSED_PAD src0_sel:DWORD src1_sel:WORD_1
	v_fma_f16 v9, v5, v7, v9
	v_mul_f16_sdwa v5, v5, v7 dst_sel:DWORD dst_unused:UNUSED_PAD src0_sel:DWORD src1_sel:WORD_1
	v_cvt_f32_f16_e32 v9, v9
	v_fma_f16 v5, v7, v8, -v5
	v_cvt_f32_f16_e32 v5, v5
	v_cvt_f64_f32_e32 v[7:8], v9
	v_cvt_f64_f32_e32 v[9:10], v5
	v_mov_b32_e32 v5, s12
	v_mul_f64 v[7:8], v[7:8], s[14:15]
	v_addc_co_u32_e32 v4, vcc, v4, v5, vcc
	v_mul_f64 v[9:10], v[9:10], s[14:15]
	v_and_or_b32 v5, v8, s16, v7
	v_cmp_ne_u32_e32 vcc, 0, v5
	v_lshrrev_b32_e32 v7, 8, v8
	v_and_or_b32 v9, v10, s16, v9
	v_bfe_u32 v11, v8, 20, 11
	v_cndmask_b32_e64 v5, 0, 1, vcc
	v_cmp_ne_u32_e32 vcc, 0, v9
	v_lshrrev_b32_e32 v12, 8, v10
	v_bfe_u32 v13, v10, 20, 11
	v_sub_u32_e32 v14, 0x3f1, v11
	v_cndmask_b32_e64 v9, 0, 1, vcc
	v_and_or_b32 v5, v7, s10, v5
	v_sub_u32_e32 v15, 0x3f1, v13
	v_med3_i32 v7, v14, 0, 13
	v_and_or_b32 v9, v12, s10, v9
	v_or_b32_e32 v14, 0x1000, v5
	v_add_u32_e32 v11, 0xfffffc10, v11
	v_med3_i32 v12, v15, 0, 13
	v_cmp_ne_u32_e32 vcc, 0, v5
	v_or_b32_e32 v16, 0x1000, v9
	v_lshrrev_b32_e32 v18, v7, v14
	v_add_u32_e32 v13, 0xfffffc10, v13
	v_lshl_or_b32 v15, v11, 12, v5
	v_cndmask_b32_e64 v5, 0, 1, vcc
	v_cmp_ne_u32_e32 vcc, 0, v9
	v_lshrrev_b32_e32 v19, v12, v16
	v_lshlrev_b32_e32 v7, v7, v18
	v_lshl_or_b32 v17, v13, 12, v9
	v_cndmask_b32_e64 v9, 0, 1, vcc
	v_lshlrev_b32_e32 v12, v12, v19
	v_cmp_ne_u32_e32 vcc, v7, v14
	v_cndmask_b32_e64 v7, 0, 1, vcc
	v_cmp_ne_u32_e32 vcc, v12, v16
	v_cndmask_b32_e64 v12, 0, 1, vcc
	v_or_b32_e32 v7, v18, v7
	v_cmp_gt_i32_e32 vcc, 1, v11
	v_cndmask_b32_e32 v7, v15, v7, vcc
	v_or_b32_e32 v12, v19, v12
	v_cmp_gt_i32_e32 vcc, 1, v13
	v_and_b32_e32 v14, 7, v7
	v_cndmask_b32_e32 v12, v17, v12, vcc
	v_cmp_lt_i32_e32 vcc, 5, v14
	v_cmp_eq_u32_e64 s[0:1], 3, v14
	v_lshrrev_b32_e32 v7, 2, v7
	v_and_b32_e32 v15, 7, v12
	s_or_b64 vcc, s[0:1], vcc
	v_cmp_lt_i32_e64 s[2:3], 5, v15
	v_cmp_eq_u32_e64 s[4:5], 3, v15
	v_addc_co_u32_e32 v7, vcc, 0, v7, vcc
	v_lshrrev_b32_e32 v12, 2, v12
	s_or_b64 vcc, s[4:5], s[2:3]
	v_addc_co_u32_e32 v12, vcc, 0, v12, vcc
	v_cmp_gt_i32_e32 vcc, 31, v11
	v_cndmask_b32_e32 v7, v0, v7, vcc
	v_cmp_gt_i32_e32 vcc, 31, v13
	v_lshl_or_b32 v5, v5, 9, v0
	v_cndmask_b32_e32 v12, v0, v12, vcc
	v_cmp_eq_u32_e32 vcc, s18, v11
	v_lshrrev_b32_e32 v8, 16, v8
	v_lshl_or_b32 v9, v9, 9, v0
	v_cndmask_b32_e32 v5, v7, v5, vcc
	v_cmp_eq_u32_e32 vcc, s18, v13
	v_lshrrev_b32_e32 v10, 16, v10
	v_cndmask_b32_e32 v7, v12, v9, vcc
	v_and_or_b32 v5, v8, s17, v5
	v_and_or_b32 v7, v10, s17, v7
	v_and_b32_e32 v5, 0xffff, v5
	v_lshl_or_b32 v5, v7, 16, v5
	global_store_dword v[3:4], v5, off
	global_load_dword v5, v28, s[6:7] offset:176
	v_lshrrev_b32_e32 v7, 16, v6
	v_mov_b32_e32 v9, s12
	v_add_co_u32_e32 v3, vcc, s11, v3
	v_addc_co_u32_e32 v4, vcc, v4, v9, vcc
	s_waitcnt vmcnt(0)
	v_mul_f16_sdwa v8, v7, v5 dst_sel:DWORD dst_unused:UNUSED_PAD src0_sel:DWORD src1_sel:WORD_1
	v_fma_f16 v8, v6, v5, v8
	v_mul_f16_sdwa v6, v6, v5 dst_sel:DWORD dst_unused:UNUSED_PAD src0_sel:DWORD src1_sel:WORD_1
	v_cvt_f32_f16_e32 v8, v8
	v_fma_f16 v5, v5, v7, -v6
	v_cvt_f32_f16_e32 v7, v5
	v_cvt_f64_f32_e32 v[5:6], v8
	v_cvt_f64_f32_e32 v[7:8], v7
	v_mul_f64 v[5:6], v[5:6], s[14:15]
	v_mul_f64 v[7:8], v[7:8], s[14:15]
	v_and_or_b32 v5, v6, s16, v5
	v_cmp_ne_u32_e32 vcc, 0, v5
	v_and_or_b32 v7, v8, s16, v7
	v_lshrrev_b32_e32 v9, 8, v6
	v_bfe_u32 v10, v6, 20, 11
	v_cndmask_b32_e64 v5, 0, 1, vcc
	v_cmp_ne_u32_e32 vcc, 0, v7
	v_lshrrev_b32_e32 v11, 8, v8
	v_bfe_u32 v12, v8, 20, 11
	v_sub_u32_e32 v13, 0x3f1, v10
	v_cndmask_b32_e64 v7, 0, 1, vcc
	v_and_or_b32 v5, v9, s10, v5
	v_sub_u32_e32 v14, 0x3f1, v12
	v_med3_i32 v9, v13, 0, 13
	v_and_or_b32 v7, v11, s10, v7
	v_or_b32_e32 v13, 0x1000, v5
	v_add_u32_e32 v10, 0xfffffc10, v10
	v_med3_i32 v11, v14, 0, 13
	v_cmp_ne_u32_e32 vcc, 0, v5
	v_or_b32_e32 v15, 0x1000, v7
	v_lshrrev_b32_e32 v17, v9, v13
	v_add_u32_e32 v12, 0xfffffc10, v12
	v_lshl_or_b32 v14, v10, 12, v5
	v_cndmask_b32_e64 v5, 0, 1, vcc
	v_cmp_ne_u32_e32 vcc, 0, v7
	v_lshrrev_b32_e32 v18, v11, v15
	v_lshlrev_b32_e32 v9, v9, v17
	v_lshl_or_b32 v16, v12, 12, v7
	v_cndmask_b32_e64 v7, 0, 1, vcc
	v_lshlrev_b32_e32 v11, v11, v18
	v_cmp_ne_u32_e32 vcc, v9, v13
	v_cndmask_b32_e64 v9, 0, 1, vcc
	v_cmp_ne_u32_e32 vcc, v11, v15
	v_cndmask_b32_e64 v11, 0, 1, vcc
	v_or_b32_e32 v9, v17, v9
	v_cmp_gt_i32_e32 vcc, 1, v10
	v_cndmask_b32_e32 v9, v14, v9, vcc
	v_or_b32_e32 v11, v18, v11
	v_cmp_gt_i32_e32 vcc, 1, v12
	v_and_b32_e32 v13, 7, v9
	v_cndmask_b32_e32 v11, v16, v11, vcc
	v_cmp_lt_i32_e32 vcc, 5, v13
	v_cmp_eq_u32_e64 s[0:1], 3, v13
	v_lshrrev_b32_e32 v9, 2, v9
	v_and_b32_e32 v14, 7, v11
	s_or_b64 vcc, s[0:1], vcc
	v_cmp_lt_i32_e64 s[2:3], 5, v14
	v_cmp_eq_u32_e64 s[4:5], 3, v14
	v_addc_co_u32_e32 v9, vcc, 0, v9, vcc
	v_lshrrev_b32_e32 v11, 2, v11
	s_or_b64 vcc, s[4:5], s[2:3]
	v_addc_co_u32_e32 v11, vcc, 0, v11, vcc
	v_cmp_gt_i32_e32 vcc, 31, v10
	v_cndmask_b32_e32 v9, v0, v9, vcc
	v_cmp_gt_i32_e32 vcc, 31, v12
	v_lshl_or_b32 v5, v5, 9, v0
	v_cndmask_b32_e32 v11, v0, v11, vcc
	v_cmp_eq_u32_e32 vcc, s18, v10
	v_lshrrev_b32_e32 v6, 16, v6
	v_lshl_or_b32 v7, v7, 9, v0
	v_cndmask_b32_e32 v5, v9, v5, vcc
	v_cmp_eq_u32_e32 vcc, s18, v12
	v_lshrrev_b32_e32 v8, 16, v8
	v_cndmask_b32_e32 v7, v11, v7, vcc
	v_and_or_b32 v5, v6, s17, v5
	v_and_or_b32 v6, v8, s17, v7
	v_and_b32_e32 v5, 0xffff, v5
	v_lshl_or_b32 v5, v6, 16, v5
	global_store_dword v[3:4], v5, off
	global_load_dword v7, v28, s[6:7] offset:220
	ds_read2_b32 v[5:6], v29 offset0:55 offset1:66
	v_add_co_u32_e32 v3, vcc, s11, v3
	s_waitcnt lgkmcnt(0)
	v_lshrrev_b32_e32 v8, 16, v5
	s_waitcnt vmcnt(0)
	v_mul_f16_sdwa v9, v8, v7 dst_sel:DWORD dst_unused:UNUSED_PAD src0_sel:DWORD src1_sel:WORD_1
	v_fma_f16 v9, v5, v7, v9
	v_mul_f16_sdwa v5, v5, v7 dst_sel:DWORD dst_unused:UNUSED_PAD src0_sel:DWORD src1_sel:WORD_1
	v_cvt_f32_f16_e32 v9, v9
	v_fma_f16 v5, v7, v8, -v5
	v_cvt_f32_f16_e32 v5, v5
	v_cvt_f64_f32_e32 v[7:8], v9
	v_cvt_f64_f32_e32 v[9:10], v5
	v_mov_b32_e32 v5, s12
	v_mul_f64 v[7:8], v[7:8], s[14:15]
	v_addc_co_u32_e32 v4, vcc, v4, v5, vcc
	v_mul_f64 v[9:10], v[9:10], s[14:15]
	v_and_or_b32 v5, v8, s16, v7
	v_cmp_ne_u32_e32 vcc, 0, v5
	v_lshrrev_b32_e32 v7, 8, v8
	v_and_or_b32 v9, v10, s16, v9
	v_bfe_u32 v11, v8, 20, 11
	v_cndmask_b32_e64 v5, 0, 1, vcc
	v_cmp_ne_u32_e32 vcc, 0, v9
	v_lshrrev_b32_e32 v12, 8, v10
	v_bfe_u32 v13, v10, 20, 11
	v_sub_u32_e32 v14, 0x3f1, v11
	v_cndmask_b32_e64 v9, 0, 1, vcc
	v_and_or_b32 v5, v7, s10, v5
	v_sub_u32_e32 v15, 0x3f1, v13
	v_med3_i32 v7, v14, 0, 13
	v_and_or_b32 v9, v12, s10, v9
	v_or_b32_e32 v14, 0x1000, v5
	v_add_u32_e32 v11, 0xfffffc10, v11
	v_med3_i32 v12, v15, 0, 13
	v_cmp_ne_u32_e32 vcc, 0, v5
	v_or_b32_e32 v16, 0x1000, v9
	v_lshrrev_b32_e32 v18, v7, v14
	v_add_u32_e32 v13, 0xfffffc10, v13
	v_lshl_or_b32 v15, v11, 12, v5
	v_cndmask_b32_e64 v5, 0, 1, vcc
	v_cmp_ne_u32_e32 vcc, 0, v9
	v_lshrrev_b32_e32 v19, v12, v16
	v_lshlrev_b32_e32 v7, v7, v18
	v_lshl_or_b32 v17, v13, 12, v9
	v_cndmask_b32_e64 v9, 0, 1, vcc
	v_lshlrev_b32_e32 v12, v12, v19
	v_cmp_ne_u32_e32 vcc, v7, v14
	v_cndmask_b32_e64 v7, 0, 1, vcc
	v_cmp_ne_u32_e32 vcc, v12, v16
	v_cndmask_b32_e64 v12, 0, 1, vcc
	v_or_b32_e32 v7, v18, v7
	v_cmp_gt_i32_e32 vcc, 1, v11
	v_cndmask_b32_e32 v7, v15, v7, vcc
	v_or_b32_e32 v12, v19, v12
	v_cmp_gt_i32_e32 vcc, 1, v13
	v_and_b32_e32 v14, 7, v7
	v_cndmask_b32_e32 v12, v17, v12, vcc
	v_cmp_lt_i32_e32 vcc, 5, v14
	v_cmp_eq_u32_e64 s[0:1], 3, v14
	v_lshrrev_b32_e32 v7, 2, v7
	v_and_b32_e32 v15, 7, v12
	s_or_b64 vcc, s[0:1], vcc
	v_cmp_lt_i32_e64 s[2:3], 5, v15
	v_cmp_eq_u32_e64 s[4:5], 3, v15
	v_addc_co_u32_e32 v7, vcc, 0, v7, vcc
	v_lshrrev_b32_e32 v12, 2, v12
	s_or_b64 vcc, s[4:5], s[2:3]
	v_addc_co_u32_e32 v12, vcc, 0, v12, vcc
	v_cmp_gt_i32_e32 vcc, 31, v11
	v_cndmask_b32_e32 v7, v0, v7, vcc
	v_cmp_gt_i32_e32 vcc, 31, v13
	v_lshl_or_b32 v5, v5, 9, v0
	v_cndmask_b32_e32 v12, v0, v12, vcc
	v_cmp_eq_u32_e32 vcc, s18, v11
	v_lshrrev_b32_e32 v8, 16, v8
	v_lshl_or_b32 v9, v9, 9, v0
	v_cndmask_b32_e32 v5, v7, v5, vcc
	v_cmp_eq_u32_e32 vcc, s18, v13
	v_lshrrev_b32_e32 v10, 16, v10
	v_cndmask_b32_e32 v7, v12, v9, vcc
	v_and_or_b32 v5, v8, s17, v5
	v_and_or_b32 v7, v10, s17, v7
	v_and_b32_e32 v5, 0xffff, v5
	v_lshl_or_b32 v5, v7, 16, v5
	global_store_dword v[3:4], v5, off
	global_load_dword v5, v28, s[6:7] offset:264
	v_lshrrev_b32_e32 v7, 16, v6
	v_mov_b32_e32 v9, s12
	v_add_co_u32_e32 v3, vcc, s11, v3
	v_addc_co_u32_e32 v4, vcc, v4, v9, vcc
	s_waitcnt vmcnt(0)
	v_mul_f16_sdwa v8, v7, v5 dst_sel:DWORD dst_unused:UNUSED_PAD src0_sel:DWORD src1_sel:WORD_1
	v_fma_f16 v8, v6, v5, v8
	v_mul_f16_sdwa v6, v6, v5 dst_sel:DWORD dst_unused:UNUSED_PAD src0_sel:DWORD src1_sel:WORD_1
	v_cvt_f32_f16_e32 v8, v8
	v_fma_f16 v5, v5, v7, -v6
	v_cvt_f32_f16_e32 v7, v5
	v_cvt_f64_f32_e32 v[5:6], v8
	v_cvt_f64_f32_e32 v[7:8], v7
	v_mul_f64 v[5:6], v[5:6], s[14:15]
	v_mul_f64 v[7:8], v[7:8], s[14:15]
	v_and_or_b32 v5, v6, s16, v5
	v_cmp_ne_u32_e32 vcc, 0, v5
	v_and_or_b32 v7, v8, s16, v7
	v_lshrrev_b32_e32 v9, 8, v6
	v_bfe_u32 v10, v6, 20, 11
	v_cndmask_b32_e64 v5, 0, 1, vcc
	v_cmp_ne_u32_e32 vcc, 0, v7
	v_lshrrev_b32_e32 v11, 8, v8
	v_bfe_u32 v12, v8, 20, 11
	v_sub_u32_e32 v13, 0x3f1, v10
	v_cndmask_b32_e64 v7, 0, 1, vcc
	v_and_or_b32 v5, v9, s10, v5
	v_sub_u32_e32 v14, 0x3f1, v12
	v_med3_i32 v9, v13, 0, 13
	v_and_or_b32 v7, v11, s10, v7
	v_or_b32_e32 v13, 0x1000, v5
	v_add_u32_e32 v10, 0xfffffc10, v10
	v_med3_i32 v11, v14, 0, 13
	v_cmp_ne_u32_e32 vcc, 0, v5
	v_or_b32_e32 v15, 0x1000, v7
	v_lshrrev_b32_e32 v17, v9, v13
	v_add_u32_e32 v12, 0xfffffc10, v12
	v_lshl_or_b32 v14, v10, 12, v5
	v_cndmask_b32_e64 v5, 0, 1, vcc
	v_cmp_ne_u32_e32 vcc, 0, v7
	v_lshrrev_b32_e32 v18, v11, v15
	v_lshlrev_b32_e32 v9, v9, v17
	v_lshl_or_b32 v16, v12, 12, v7
	v_cndmask_b32_e64 v7, 0, 1, vcc
	v_lshlrev_b32_e32 v11, v11, v18
	v_cmp_ne_u32_e32 vcc, v9, v13
	v_cndmask_b32_e64 v9, 0, 1, vcc
	v_cmp_ne_u32_e32 vcc, v11, v15
	v_cndmask_b32_e64 v11, 0, 1, vcc
	v_or_b32_e32 v9, v17, v9
	v_cmp_gt_i32_e32 vcc, 1, v10
	v_cndmask_b32_e32 v9, v14, v9, vcc
	v_or_b32_e32 v11, v18, v11
	v_cmp_gt_i32_e32 vcc, 1, v12
	v_and_b32_e32 v13, 7, v9
	v_cndmask_b32_e32 v11, v16, v11, vcc
	v_cmp_lt_i32_e32 vcc, 5, v13
	v_cmp_eq_u32_e64 s[0:1], 3, v13
	v_lshrrev_b32_e32 v9, 2, v9
	v_and_b32_e32 v14, 7, v11
	s_or_b64 vcc, s[0:1], vcc
	v_cmp_lt_i32_e64 s[2:3], 5, v14
	v_cmp_eq_u32_e64 s[4:5], 3, v14
	v_addc_co_u32_e32 v9, vcc, 0, v9, vcc
	v_lshrrev_b32_e32 v11, 2, v11
	s_or_b64 vcc, s[4:5], s[2:3]
	v_addc_co_u32_e32 v11, vcc, 0, v11, vcc
	v_cmp_gt_i32_e32 vcc, 31, v10
	v_cndmask_b32_e32 v9, v0, v9, vcc
	v_cmp_gt_i32_e32 vcc, 31, v12
	v_lshl_or_b32 v5, v5, 9, v0
	v_cndmask_b32_e32 v11, v0, v11, vcc
	v_cmp_eq_u32_e32 vcc, s18, v10
	v_lshrrev_b32_e32 v6, 16, v6
	v_lshl_or_b32 v7, v7, 9, v0
	v_cndmask_b32_e32 v5, v9, v5, vcc
	v_cmp_eq_u32_e32 vcc, s18, v12
	v_lshrrev_b32_e32 v8, 16, v8
	v_cndmask_b32_e32 v7, v11, v7, vcc
	v_and_or_b32 v5, v6, s17, v5
	v_and_or_b32 v6, v8, s17, v7
	v_and_b32_e32 v5, 0xffff, v5
	v_lshl_or_b32 v5, v6, 16, v5
	global_store_dword v[3:4], v5, off
	global_load_dword v7, v28, s[6:7] offset:308
	ds_read2_b32 v[5:6], v29 offset0:77 offset1:88
	v_add_co_u32_e32 v3, vcc, s11, v3
	s_waitcnt lgkmcnt(0)
	v_lshrrev_b32_e32 v8, 16, v5
	s_waitcnt vmcnt(0)
	v_mul_f16_sdwa v9, v8, v7 dst_sel:DWORD dst_unused:UNUSED_PAD src0_sel:DWORD src1_sel:WORD_1
	v_fma_f16 v9, v5, v7, v9
	v_mul_f16_sdwa v5, v5, v7 dst_sel:DWORD dst_unused:UNUSED_PAD src0_sel:DWORD src1_sel:WORD_1
	v_cvt_f32_f16_e32 v9, v9
	v_fma_f16 v5, v7, v8, -v5
	v_cvt_f32_f16_e32 v5, v5
	v_cvt_f64_f32_e32 v[7:8], v9
	v_cvt_f64_f32_e32 v[9:10], v5
	v_mov_b32_e32 v5, s12
	v_mul_f64 v[7:8], v[7:8], s[14:15]
	v_addc_co_u32_e32 v4, vcc, v4, v5, vcc
	v_mul_f64 v[9:10], v[9:10], s[14:15]
	v_and_or_b32 v5, v8, s16, v7
	v_cmp_ne_u32_e32 vcc, 0, v5
	v_lshrrev_b32_e32 v7, 8, v8
	v_and_or_b32 v9, v10, s16, v9
	v_bfe_u32 v11, v8, 20, 11
	v_cndmask_b32_e64 v5, 0, 1, vcc
	v_cmp_ne_u32_e32 vcc, 0, v9
	v_lshrrev_b32_e32 v12, 8, v10
	v_bfe_u32 v13, v10, 20, 11
	v_sub_u32_e32 v14, 0x3f1, v11
	v_cndmask_b32_e64 v9, 0, 1, vcc
	v_and_or_b32 v5, v7, s10, v5
	v_sub_u32_e32 v15, 0x3f1, v13
	v_med3_i32 v7, v14, 0, 13
	v_and_or_b32 v9, v12, s10, v9
	v_or_b32_e32 v14, 0x1000, v5
	v_add_u32_e32 v11, 0xfffffc10, v11
	v_med3_i32 v12, v15, 0, 13
	v_cmp_ne_u32_e32 vcc, 0, v5
	v_or_b32_e32 v16, 0x1000, v9
	v_lshrrev_b32_e32 v18, v7, v14
	v_add_u32_e32 v13, 0xfffffc10, v13
	v_lshl_or_b32 v15, v11, 12, v5
	v_cndmask_b32_e64 v5, 0, 1, vcc
	v_cmp_ne_u32_e32 vcc, 0, v9
	v_lshrrev_b32_e32 v19, v12, v16
	v_lshlrev_b32_e32 v7, v7, v18
	v_lshl_or_b32 v17, v13, 12, v9
	v_cndmask_b32_e64 v9, 0, 1, vcc
	v_lshlrev_b32_e32 v12, v12, v19
	v_cmp_ne_u32_e32 vcc, v7, v14
	v_cndmask_b32_e64 v7, 0, 1, vcc
	v_cmp_ne_u32_e32 vcc, v12, v16
	v_cndmask_b32_e64 v12, 0, 1, vcc
	v_or_b32_e32 v7, v18, v7
	v_cmp_gt_i32_e32 vcc, 1, v11
	v_cndmask_b32_e32 v7, v15, v7, vcc
	v_or_b32_e32 v12, v19, v12
	v_cmp_gt_i32_e32 vcc, 1, v13
	v_and_b32_e32 v14, 7, v7
	v_cndmask_b32_e32 v12, v17, v12, vcc
	v_cmp_lt_i32_e32 vcc, 5, v14
	v_cmp_eq_u32_e64 s[0:1], 3, v14
	v_lshrrev_b32_e32 v7, 2, v7
	v_and_b32_e32 v15, 7, v12
	s_or_b64 vcc, s[0:1], vcc
	v_cmp_lt_i32_e64 s[2:3], 5, v15
	v_cmp_eq_u32_e64 s[4:5], 3, v15
	v_addc_co_u32_e32 v7, vcc, 0, v7, vcc
	v_lshrrev_b32_e32 v12, 2, v12
	s_or_b64 vcc, s[4:5], s[2:3]
	v_addc_co_u32_e32 v12, vcc, 0, v12, vcc
	v_cmp_gt_i32_e32 vcc, 31, v11
	v_cndmask_b32_e32 v7, v0, v7, vcc
	v_cmp_gt_i32_e32 vcc, 31, v13
	v_lshl_or_b32 v5, v5, 9, v0
	v_cndmask_b32_e32 v12, v0, v12, vcc
	v_cmp_eq_u32_e32 vcc, s18, v11
	v_lshrrev_b32_e32 v8, 16, v8
	v_lshl_or_b32 v9, v9, 9, v0
	v_cndmask_b32_e32 v5, v7, v5, vcc
	v_cmp_eq_u32_e32 vcc, s18, v13
	v_lshrrev_b32_e32 v10, 16, v10
	v_cndmask_b32_e32 v7, v12, v9, vcc
	v_and_or_b32 v5, v8, s17, v5
	v_and_or_b32 v7, v10, s17, v7
	v_and_b32_e32 v5, 0xffff, v5
	v_lshl_or_b32 v5, v7, 16, v5
	global_store_dword v[3:4], v5, off
	global_load_dword v5, v28, s[6:7] offset:352
	v_lshrrev_b32_e32 v7, 16, v6
	v_mov_b32_e32 v9, s12
	v_add_co_u32_e32 v3, vcc, s11, v3
	v_addc_co_u32_e32 v4, vcc, v4, v9, vcc
	s_waitcnt vmcnt(0)
	v_mul_f16_sdwa v8, v7, v5 dst_sel:DWORD dst_unused:UNUSED_PAD src0_sel:DWORD src1_sel:WORD_1
	v_fma_f16 v8, v6, v5, v8
	v_mul_f16_sdwa v6, v6, v5 dst_sel:DWORD dst_unused:UNUSED_PAD src0_sel:DWORD src1_sel:WORD_1
	v_cvt_f32_f16_e32 v8, v8
	v_fma_f16 v5, v5, v7, -v6
	v_cvt_f32_f16_e32 v7, v5
	v_cvt_f64_f32_e32 v[5:6], v8
	v_cvt_f64_f32_e32 v[7:8], v7
	v_mul_f64 v[5:6], v[5:6], s[14:15]
	v_mul_f64 v[7:8], v[7:8], s[14:15]
	v_and_or_b32 v5, v6, s16, v5
	v_cmp_ne_u32_e32 vcc, 0, v5
	v_and_or_b32 v7, v8, s16, v7
	v_lshrrev_b32_e32 v9, 8, v6
	v_bfe_u32 v10, v6, 20, 11
	v_cndmask_b32_e64 v5, 0, 1, vcc
	v_cmp_ne_u32_e32 vcc, 0, v7
	v_lshrrev_b32_e32 v11, 8, v8
	v_bfe_u32 v12, v8, 20, 11
	v_sub_u32_e32 v13, 0x3f1, v10
	v_cndmask_b32_e64 v7, 0, 1, vcc
	v_and_or_b32 v5, v9, s10, v5
	v_sub_u32_e32 v14, 0x3f1, v12
	v_med3_i32 v9, v13, 0, 13
	v_and_or_b32 v7, v11, s10, v7
	v_or_b32_e32 v13, 0x1000, v5
	v_add_u32_e32 v10, 0xfffffc10, v10
	v_med3_i32 v11, v14, 0, 13
	v_cmp_ne_u32_e32 vcc, 0, v5
	v_or_b32_e32 v15, 0x1000, v7
	v_lshrrev_b32_e32 v17, v9, v13
	v_add_u32_e32 v12, 0xfffffc10, v12
	v_lshl_or_b32 v14, v10, 12, v5
	v_cndmask_b32_e64 v5, 0, 1, vcc
	v_cmp_ne_u32_e32 vcc, 0, v7
	v_lshrrev_b32_e32 v18, v11, v15
	v_lshlrev_b32_e32 v9, v9, v17
	v_lshl_or_b32 v16, v12, 12, v7
	v_cndmask_b32_e64 v7, 0, 1, vcc
	v_lshlrev_b32_e32 v11, v11, v18
	v_cmp_ne_u32_e32 vcc, v9, v13
	v_cndmask_b32_e64 v9, 0, 1, vcc
	v_cmp_ne_u32_e32 vcc, v11, v15
	v_cndmask_b32_e64 v11, 0, 1, vcc
	v_or_b32_e32 v9, v17, v9
	v_cmp_gt_i32_e32 vcc, 1, v10
	v_cndmask_b32_e32 v9, v14, v9, vcc
	v_or_b32_e32 v11, v18, v11
	v_cmp_gt_i32_e32 vcc, 1, v12
	v_and_b32_e32 v13, 7, v9
	v_cndmask_b32_e32 v11, v16, v11, vcc
	v_cmp_lt_i32_e32 vcc, 5, v13
	v_cmp_eq_u32_e64 s[0:1], 3, v13
	v_lshrrev_b32_e32 v9, 2, v9
	v_and_b32_e32 v14, 7, v11
	s_or_b64 vcc, s[0:1], vcc
	v_cmp_lt_i32_e64 s[2:3], 5, v14
	v_cmp_eq_u32_e64 s[4:5], 3, v14
	v_addc_co_u32_e32 v9, vcc, 0, v9, vcc
	v_lshrrev_b32_e32 v11, 2, v11
	s_or_b64 vcc, s[4:5], s[2:3]
	v_addc_co_u32_e32 v11, vcc, 0, v11, vcc
	v_cmp_gt_i32_e32 vcc, 31, v10
	v_cndmask_b32_e32 v9, v0, v9, vcc
	v_cmp_gt_i32_e32 vcc, 31, v12
	v_lshl_or_b32 v5, v5, 9, v0
	v_cndmask_b32_e32 v11, v0, v11, vcc
	v_cmp_eq_u32_e32 vcc, s18, v10
	v_lshrrev_b32_e32 v6, 16, v6
	v_lshl_or_b32 v7, v7, 9, v0
	v_cndmask_b32_e32 v5, v9, v5, vcc
	v_cmp_eq_u32_e32 vcc, s18, v12
	v_lshrrev_b32_e32 v8, 16, v8
	v_cndmask_b32_e32 v7, v11, v7, vcc
	v_and_or_b32 v5, v6, s17, v5
	v_and_or_b32 v6, v8, s17, v7
	v_and_b32_e32 v5, 0xffff, v5
	v_lshl_or_b32 v5, v6, 16, v5
	global_store_dword v[3:4], v5, off
	global_load_dword v7, v28, s[6:7] offset:396
	ds_read2_b32 v[5:6], v29 offset0:99 offset1:110
	v_add_co_u32_e32 v3, vcc, s11, v3
	s_waitcnt lgkmcnt(0)
	v_lshrrev_b32_e32 v8, 16, v5
	s_waitcnt vmcnt(0)
	v_mul_f16_sdwa v9, v8, v7 dst_sel:DWORD dst_unused:UNUSED_PAD src0_sel:DWORD src1_sel:WORD_1
	v_fma_f16 v9, v5, v7, v9
	v_mul_f16_sdwa v5, v5, v7 dst_sel:DWORD dst_unused:UNUSED_PAD src0_sel:DWORD src1_sel:WORD_1
	v_cvt_f32_f16_e32 v9, v9
	v_fma_f16 v5, v7, v8, -v5
	v_cvt_f32_f16_e32 v5, v5
	v_cvt_f64_f32_e32 v[7:8], v9
	v_cvt_f64_f32_e32 v[9:10], v5
	v_mov_b32_e32 v5, s12
	v_mul_f64 v[7:8], v[7:8], s[14:15]
	v_addc_co_u32_e32 v4, vcc, v4, v5, vcc
	v_mul_f64 v[9:10], v[9:10], s[14:15]
	v_and_or_b32 v5, v8, s16, v7
	v_cmp_ne_u32_e32 vcc, 0, v5
	v_lshrrev_b32_e32 v7, 8, v8
	v_and_or_b32 v9, v10, s16, v9
	v_bfe_u32 v11, v8, 20, 11
	v_cndmask_b32_e64 v5, 0, 1, vcc
	v_cmp_ne_u32_e32 vcc, 0, v9
	v_lshrrev_b32_e32 v12, 8, v10
	v_bfe_u32 v13, v10, 20, 11
	v_sub_u32_e32 v14, 0x3f1, v11
	v_cndmask_b32_e64 v9, 0, 1, vcc
	v_and_or_b32 v5, v7, s10, v5
	v_sub_u32_e32 v15, 0x3f1, v13
	v_med3_i32 v7, v14, 0, 13
	v_and_or_b32 v9, v12, s10, v9
	v_or_b32_e32 v14, 0x1000, v5
	v_add_u32_e32 v11, 0xfffffc10, v11
	v_med3_i32 v12, v15, 0, 13
	v_cmp_ne_u32_e32 vcc, 0, v5
	v_or_b32_e32 v16, 0x1000, v9
	v_lshrrev_b32_e32 v18, v7, v14
	v_add_u32_e32 v13, 0xfffffc10, v13
	v_lshl_or_b32 v15, v11, 12, v5
	v_cndmask_b32_e64 v5, 0, 1, vcc
	v_cmp_ne_u32_e32 vcc, 0, v9
	v_lshrrev_b32_e32 v19, v12, v16
	v_lshlrev_b32_e32 v7, v7, v18
	v_lshl_or_b32 v17, v13, 12, v9
	v_cndmask_b32_e64 v9, 0, 1, vcc
	v_lshlrev_b32_e32 v12, v12, v19
	v_cmp_ne_u32_e32 vcc, v7, v14
	v_cndmask_b32_e64 v7, 0, 1, vcc
	v_cmp_ne_u32_e32 vcc, v12, v16
	v_cndmask_b32_e64 v12, 0, 1, vcc
	v_or_b32_e32 v7, v18, v7
	v_cmp_gt_i32_e32 vcc, 1, v11
	v_cndmask_b32_e32 v7, v15, v7, vcc
	v_or_b32_e32 v12, v19, v12
	v_cmp_gt_i32_e32 vcc, 1, v13
	v_and_b32_e32 v14, 7, v7
	v_cndmask_b32_e32 v12, v17, v12, vcc
	v_cmp_lt_i32_e32 vcc, 5, v14
	v_cmp_eq_u32_e64 s[0:1], 3, v14
	v_lshrrev_b32_e32 v7, 2, v7
	v_and_b32_e32 v15, 7, v12
	s_or_b64 vcc, s[0:1], vcc
	v_cmp_lt_i32_e64 s[2:3], 5, v15
	v_cmp_eq_u32_e64 s[4:5], 3, v15
	v_addc_co_u32_e32 v7, vcc, 0, v7, vcc
	v_lshrrev_b32_e32 v12, 2, v12
	s_or_b64 vcc, s[4:5], s[2:3]
	v_addc_co_u32_e32 v12, vcc, 0, v12, vcc
	v_cmp_gt_i32_e32 vcc, 31, v11
	v_cndmask_b32_e32 v7, v0, v7, vcc
	v_cmp_gt_i32_e32 vcc, 31, v13
	v_lshl_or_b32 v5, v5, 9, v0
	v_cndmask_b32_e32 v12, v0, v12, vcc
	v_cmp_eq_u32_e32 vcc, s18, v11
	v_lshrrev_b32_e32 v8, 16, v8
	v_lshl_or_b32 v9, v9, 9, v0
	v_cndmask_b32_e32 v5, v7, v5, vcc
	v_cmp_eq_u32_e32 vcc, s18, v13
	v_lshrrev_b32_e32 v10, 16, v10
	v_cndmask_b32_e32 v7, v12, v9, vcc
	v_and_or_b32 v5, v8, s17, v5
	v_and_or_b32 v7, v10, s17, v7
	v_and_b32_e32 v5, 0xffff, v5
	v_lshl_or_b32 v5, v7, 16, v5
	global_store_dword v[3:4], v5, off
	global_load_dword v5, v28, s[6:7] offset:440
	v_lshrrev_b32_e32 v7, 16, v6
	v_mov_b32_e32 v9, s12
	v_add_co_u32_e32 v3, vcc, s11, v3
	v_addc_co_u32_e32 v4, vcc, v4, v9, vcc
	s_waitcnt vmcnt(0)
	v_mul_f16_sdwa v8, v7, v5 dst_sel:DWORD dst_unused:UNUSED_PAD src0_sel:DWORD src1_sel:WORD_1
	v_fma_f16 v8, v6, v5, v8
	v_mul_f16_sdwa v6, v6, v5 dst_sel:DWORD dst_unused:UNUSED_PAD src0_sel:DWORD src1_sel:WORD_1
	v_cvt_f32_f16_e32 v8, v8
	v_fma_f16 v5, v5, v7, -v6
	v_cvt_f32_f16_e32 v7, v5
	v_cvt_f64_f32_e32 v[5:6], v8
	v_cvt_f64_f32_e32 v[7:8], v7
	v_mul_f64 v[5:6], v[5:6], s[14:15]
	v_mul_f64 v[7:8], v[7:8], s[14:15]
	v_and_or_b32 v5, v6, s16, v5
	v_cmp_ne_u32_e32 vcc, 0, v5
	v_and_or_b32 v7, v8, s16, v7
	v_lshrrev_b32_e32 v9, 8, v6
	v_bfe_u32 v10, v6, 20, 11
	v_cndmask_b32_e64 v5, 0, 1, vcc
	v_cmp_ne_u32_e32 vcc, 0, v7
	v_lshrrev_b32_e32 v11, 8, v8
	v_bfe_u32 v12, v8, 20, 11
	v_sub_u32_e32 v13, 0x3f1, v10
	v_cndmask_b32_e64 v7, 0, 1, vcc
	v_and_or_b32 v5, v9, s10, v5
	v_sub_u32_e32 v14, 0x3f1, v12
	v_med3_i32 v9, v13, 0, 13
	v_and_or_b32 v7, v11, s10, v7
	v_or_b32_e32 v13, 0x1000, v5
	v_add_u32_e32 v10, 0xfffffc10, v10
	v_med3_i32 v11, v14, 0, 13
	v_cmp_ne_u32_e32 vcc, 0, v5
	v_or_b32_e32 v15, 0x1000, v7
	v_lshrrev_b32_e32 v17, v9, v13
	v_add_u32_e32 v12, 0xfffffc10, v12
	v_lshl_or_b32 v14, v10, 12, v5
	v_cndmask_b32_e64 v5, 0, 1, vcc
	v_cmp_ne_u32_e32 vcc, 0, v7
	v_lshrrev_b32_e32 v18, v11, v15
	v_lshlrev_b32_e32 v9, v9, v17
	v_lshl_or_b32 v16, v12, 12, v7
	v_cndmask_b32_e64 v7, 0, 1, vcc
	v_lshlrev_b32_e32 v11, v11, v18
	v_cmp_ne_u32_e32 vcc, v9, v13
	v_cndmask_b32_e64 v9, 0, 1, vcc
	v_cmp_ne_u32_e32 vcc, v11, v15
	v_cndmask_b32_e64 v11, 0, 1, vcc
	v_or_b32_e32 v9, v17, v9
	v_cmp_gt_i32_e32 vcc, 1, v10
	v_cndmask_b32_e32 v9, v14, v9, vcc
	v_or_b32_e32 v11, v18, v11
	v_cmp_gt_i32_e32 vcc, 1, v12
	v_and_b32_e32 v13, 7, v9
	v_cndmask_b32_e32 v11, v16, v11, vcc
	v_cmp_lt_i32_e32 vcc, 5, v13
	v_cmp_eq_u32_e64 s[0:1], 3, v13
	v_lshrrev_b32_e32 v9, 2, v9
	v_and_b32_e32 v14, 7, v11
	s_or_b64 vcc, s[0:1], vcc
	v_cmp_lt_i32_e64 s[2:3], 5, v14
	v_cmp_eq_u32_e64 s[4:5], 3, v14
	v_addc_co_u32_e32 v9, vcc, 0, v9, vcc
	v_lshrrev_b32_e32 v11, 2, v11
	s_or_b64 vcc, s[4:5], s[2:3]
	v_addc_co_u32_e32 v11, vcc, 0, v11, vcc
	v_cmp_gt_i32_e32 vcc, 31, v10
	v_cndmask_b32_e32 v9, v0, v9, vcc
	v_cmp_gt_i32_e32 vcc, 31, v12
	v_lshl_or_b32 v5, v5, 9, v0
	v_cndmask_b32_e32 v11, v0, v11, vcc
	v_cmp_eq_u32_e32 vcc, s18, v10
	v_lshrrev_b32_e32 v6, 16, v6
	v_lshl_or_b32 v7, v7, 9, v0
	v_cndmask_b32_e32 v5, v9, v5, vcc
	v_cmp_eq_u32_e32 vcc, s18, v12
	v_lshrrev_b32_e32 v8, 16, v8
	v_cndmask_b32_e32 v7, v11, v7, vcc
	v_and_or_b32 v5, v6, s17, v5
	v_and_or_b32 v6, v8, s17, v7
	v_and_b32_e32 v5, 0xffff, v5
	v_lshl_or_b32 v5, v6, 16, v5
	global_store_dword v[3:4], v5, off
	global_load_dword v7, v28, s[6:7] offset:484
	ds_read2_b32 v[5:6], v29 offset0:121 offset1:132
	v_add_co_u32_e32 v3, vcc, s11, v3
	s_waitcnt lgkmcnt(0)
	v_lshrrev_b32_e32 v8, 16, v5
	s_waitcnt vmcnt(0)
	v_mul_f16_sdwa v9, v8, v7 dst_sel:DWORD dst_unused:UNUSED_PAD src0_sel:DWORD src1_sel:WORD_1
	v_fma_f16 v9, v5, v7, v9
	v_mul_f16_sdwa v5, v5, v7 dst_sel:DWORD dst_unused:UNUSED_PAD src0_sel:DWORD src1_sel:WORD_1
	v_cvt_f32_f16_e32 v9, v9
	v_fma_f16 v5, v7, v8, -v5
	v_cvt_f32_f16_e32 v5, v5
	v_cvt_f64_f32_e32 v[7:8], v9
	v_cvt_f64_f32_e32 v[9:10], v5
	v_mov_b32_e32 v5, s12
	v_mul_f64 v[7:8], v[7:8], s[14:15]
	v_addc_co_u32_e32 v4, vcc, v4, v5, vcc
	v_mul_f64 v[9:10], v[9:10], s[14:15]
	v_and_or_b32 v5, v8, s16, v7
	v_cmp_ne_u32_e32 vcc, 0, v5
	v_lshrrev_b32_e32 v7, 8, v8
	v_and_or_b32 v9, v10, s16, v9
	v_bfe_u32 v11, v8, 20, 11
	v_cndmask_b32_e64 v5, 0, 1, vcc
	v_cmp_ne_u32_e32 vcc, 0, v9
	v_lshrrev_b32_e32 v12, 8, v10
	v_bfe_u32 v13, v10, 20, 11
	v_sub_u32_e32 v14, 0x3f1, v11
	v_cndmask_b32_e64 v9, 0, 1, vcc
	v_and_or_b32 v5, v7, s10, v5
	v_sub_u32_e32 v15, 0x3f1, v13
	v_med3_i32 v7, v14, 0, 13
	v_and_or_b32 v9, v12, s10, v9
	v_or_b32_e32 v14, 0x1000, v5
	v_add_u32_e32 v11, 0xfffffc10, v11
	v_med3_i32 v12, v15, 0, 13
	v_cmp_ne_u32_e32 vcc, 0, v5
	v_or_b32_e32 v16, 0x1000, v9
	v_lshrrev_b32_e32 v18, v7, v14
	v_add_u32_e32 v13, 0xfffffc10, v13
	v_lshl_or_b32 v15, v11, 12, v5
	v_cndmask_b32_e64 v5, 0, 1, vcc
	v_cmp_ne_u32_e32 vcc, 0, v9
	v_lshrrev_b32_e32 v19, v12, v16
	v_lshlrev_b32_e32 v7, v7, v18
	v_lshl_or_b32 v17, v13, 12, v9
	v_cndmask_b32_e64 v9, 0, 1, vcc
	v_lshlrev_b32_e32 v12, v12, v19
	v_cmp_ne_u32_e32 vcc, v7, v14
	v_cndmask_b32_e64 v7, 0, 1, vcc
	v_cmp_ne_u32_e32 vcc, v12, v16
	v_cndmask_b32_e64 v12, 0, 1, vcc
	v_or_b32_e32 v7, v18, v7
	v_cmp_gt_i32_e32 vcc, 1, v11
	v_cndmask_b32_e32 v7, v15, v7, vcc
	v_or_b32_e32 v12, v19, v12
	v_cmp_gt_i32_e32 vcc, 1, v13
	v_and_b32_e32 v14, 7, v7
	v_cndmask_b32_e32 v12, v17, v12, vcc
	v_cmp_lt_i32_e32 vcc, 5, v14
	v_cmp_eq_u32_e64 s[0:1], 3, v14
	v_lshrrev_b32_e32 v7, 2, v7
	v_and_b32_e32 v15, 7, v12
	s_or_b64 vcc, s[0:1], vcc
	v_cmp_lt_i32_e64 s[2:3], 5, v15
	v_cmp_eq_u32_e64 s[4:5], 3, v15
	v_addc_co_u32_e32 v7, vcc, 0, v7, vcc
	v_lshrrev_b32_e32 v12, 2, v12
	s_or_b64 vcc, s[4:5], s[2:3]
	v_addc_co_u32_e32 v12, vcc, 0, v12, vcc
	v_cmp_gt_i32_e32 vcc, 31, v11
	v_cndmask_b32_e32 v7, v0, v7, vcc
	v_cmp_gt_i32_e32 vcc, 31, v13
	v_lshl_or_b32 v5, v5, 9, v0
	v_cndmask_b32_e32 v12, v0, v12, vcc
	v_cmp_eq_u32_e32 vcc, s18, v11
	v_lshrrev_b32_e32 v8, 16, v8
	v_lshl_or_b32 v9, v9, 9, v0
	v_cndmask_b32_e32 v5, v7, v5, vcc
	v_cmp_eq_u32_e32 vcc, s18, v13
	v_lshrrev_b32_e32 v10, 16, v10
	v_cndmask_b32_e32 v7, v12, v9, vcc
	v_and_or_b32 v5, v8, s17, v5
	v_and_or_b32 v7, v10, s17, v7
	v_and_b32_e32 v5, 0xffff, v5
	v_lshl_or_b32 v5, v7, 16, v5
	global_store_dword v[3:4], v5, off
	global_load_dword v5, v28, s[6:7] offset:528
	v_lshrrev_b32_e32 v7, 16, v6
	v_mov_b32_e32 v9, s12
	v_add_co_u32_e32 v3, vcc, s11, v3
	v_addc_co_u32_e32 v4, vcc, v4, v9, vcc
	s_waitcnt vmcnt(0)
	v_mul_f16_sdwa v8, v7, v5 dst_sel:DWORD dst_unused:UNUSED_PAD src0_sel:DWORD src1_sel:WORD_1
	v_fma_f16 v8, v6, v5, v8
	v_mul_f16_sdwa v6, v6, v5 dst_sel:DWORD dst_unused:UNUSED_PAD src0_sel:DWORD src1_sel:WORD_1
	v_cvt_f32_f16_e32 v8, v8
	v_fma_f16 v5, v5, v7, -v6
	v_cvt_f32_f16_e32 v7, v5
	v_cvt_f64_f32_e32 v[5:6], v8
	v_cvt_f64_f32_e32 v[7:8], v7
	v_mul_f64 v[5:6], v[5:6], s[14:15]
	v_mul_f64 v[7:8], v[7:8], s[14:15]
	v_and_or_b32 v5, v6, s16, v5
	v_cmp_ne_u32_e32 vcc, 0, v5
	v_and_or_b32 v7, v8, s16, v7
	v_lshrrev_b32_e32 v9, 8, v6
	v_bfe_u32 v10, v6, 20, 11
	v_cndmask_b32_e64 v5, 0, 1, vcc
	v_cmp_ne_u32_e32 vcc, 0, v7
	v_lshrrev_b32_e32 v11, 8, v8
	v_bfe_u32 v12, v8, 20, 11
	v_sub_u32_e32 v13, 0x3f1, v10
	v_cndmask_b32_e64 v7, 0, 1, vcc
	v_and_or_b32 v5, v9, s10, v5
	v_sub_u32_e32 v14, 0x3f1, v12
	v_med3_i32 v9, v13, 0, 13
	v_and_or_b32 v7, v11, s10, v7
	v_or_b32_e32 v13, 0x1000, v5
	v_add_u32_e32 v10, 0xfffffc10, v10
	v_med3_i32 v11, v14, 0, 13
	v_cmp_ne_u32_e32 vcc, 0, v5
	v_or_b32_e32 v15, 0x1000, v7
	v_lshrrev_b32_e32 v17, v9, v13
	v_add_u32_e32 v12, 0xfffffc10, v12
	v_lshl_or_b32 v14, v10, 12, v5
	v_cndmask_b32_e64 v5, 0, 1, vcc
	v_cmp_ne_u32_e32 vcc, 0, v7
	v_lshrrev_b32_e32 v18, v11, v15
	v_lshlrev_b32_e32 v9, v9, v17
	v_lshl_or_b32 v16, v12, 12, v7
	v_cndmask_b32_e64 v7, 0, 1, vcc
	v_lshlrev_b32_e32 v11, v11, v18
	v_cmp_ne_u32_e32 vcc, v9, v13
	v_cndmask_b32_e64 v9, 0, 1, vcc
	v_cmp_ne_u32_e32 vcc, v11, v15
	v_cndmask_b32_e64 v11, 0, 1, vcc
	v_or_b32_e32 v9, v17, v9
	v_cmp_gt_i32_e32 vcc, 1, v10
	v_cndmask_b32_e32 v9, v14, v9, vcc
	v_or_b32_e32 v11, v18, v11
	v_cmp_gt_i32_e32 vcc, 1, v12
	v_and_b32_e32 v13, 7, v9
	v_cndmask_b32_e32 v11, v16, v11, vcc
	v_cmp_lt_i32_e32 vcc, 5, v13
	v_cmp_eq_u32_e64 s[0:1], 3, v13
	v_lshrrev_b32_e32 v9, 2, v9
	v_and_b32_e32 v14, 7, v11
	s_or_b64 vcc, s[0:1], vcc
	v_cmp_lt_i32_e64 s[2:3], 5, v14
	v_cmp_eq_u32_e64 s[4:5], 3, v14
	v_addc_co_u32_e32 v9, vcc, 0, v9, vcc
	v_lshrrev_b32_e32 v11, 2, v11
	s_or_b64 vcc, s[4:5], s[2:3]
	v_addc_co_u32_e32 v11, vcc, 0, v11, vcc
	v_cmp_gt_i32_e32 vcc, 31, v10
	v_cndmask_b32_e32 v9, v0, v9, vcc
	v_cmp_gt_i32_e32 vcc, 31, v12
	v_lshl_or_b32 v5, v5, 9, v0
	v_cndmask_b32_e32 v11, v0, v11, vcc
	v_cmp_eq_u32_e32 vcc, s18, v10
	v_lshrrev_b32_e32 v6, 16, v6
	v_lshl_or_b32 v7, v7, 9, v0
	v_cndmask_b32_e32 v5, v9, v5, vcc
	v_cmp_eq_u32_e32 vcc, s18, v12
	v_lshrrev_b32_e32 v8, 16, v8
	v_cndmask_b32_e32 v7, v11, v7, vcc
	v_and_or_b32 v5, v6, s17, v5
	v_and_or_b32 v6, v8, s17, v7
	v_and_b32_e32 v5, 0xffff, v5
	v_lshl_or_b32 v5, v6, 16, v5
	global_store_dword v[3:4], v5, off
	global_load_dword v7, v28, s[6:7] offset:572
	ds_read2_b32 v[5:6], v29 offset0:143 offset1:154
	v_add_co_u32_e32 v3, vcc, s11, v3
	s_waitcnt lgkmcnt(0)
	v_lshrrev_b32_e32 v8, 16, v5
	s_waitcnt vmcnt(0)
	v_mul_f16_sdwa v9, v8, v7 dst_sel:DWORD dst_unused:UNUSED_PAD src0_sel:DWORD src1_sel:WORD_1
	v_fma_f16 v9, v5, v7, v9
	v_mul_f16_sdwa v5, v5, v7 dst_sel:DWORD dst_unused:UNUSED_PAD src0_sel:DWORD src1_sel:WORD_1
	v_cvt_f32_f16_e32 v9, v9
	v_fma_f16 v5, v7, v8, -v5
	v_cvt_f32_f16_e32 v5, v5
	v_cvt_f64_f32_e32 v[7:8], v9
	v_cvt_f64_f32_e32 v[9:10], v5
	v_mov_b32_e32 v5, s12
	v_mul_f64 v[7:8], v[7:8], s[14:15]
	v_addc_co_u32_e32 v4, vcc, v4, v5, vcc
	v_mul_f64 v[9:10], v[9:10], s[14:15]
	v_and_or_b32 v5, v8, s16, v7
	v_cmp_ne_u32_e32 vcc, 0, v5
	v_lshrrev_b32_e32 v7, 8, v8
	v_and_or_b32 v9, v10, s16, v9
	v_bfe_u32 v11, v8, 20, 11
	v_cndmask_b32_e64 v5, 0, 1, vcc
	v_cmp_ne_u32_e32 vcc, 0, v9
	v_lshrrev_b32_e32 v12, 8, v10
	v_bfe_u32 v13, v10, 20, 11
	v_sub_u32_e32 v14, 0x3f1, v11
	v_cndmask_b32_e64 v9, 0, 1, vcc
	v_and_or_b32 v5, v7, s10, v5
	v_sub_u32_e32 v15, 0x3f1, v13
	v_med3_i32 v7, v14, 0, 13
	v_and_or_b32 v9, v12, s10, v9
	v_or_b32_e32 v14, 0x1000, v5
	v_add_u32_e32 v11, 0xfffffc10, v11
	v_med3_i32 v12, v15, 0, 13
	v_cmp_ne_u32_e32 vcc, 0, v5
	v_or_b32_e32 v16, 0x1000, v9
	v_lshrrev_b32_e32 v18, v7, v14
	v_add_u32_e32 v13, 0xfffffc10, v13
	v_lshl_or_b32 v15, v11, 12, v5
	v_cndmask_b32_e64 v5, 0, 1, vcc
	v_cmp_ne_u32_e32 vcc, 0, v9
	v_lshrrev_b32_e32 v19, v12, v16
	v_lshlrev_b32_e32 v7, v7, v18
	v_lshl_or_b32 v17, v13, 12, v9
	v_cndmask_b32_e64 v9, 0, 1, vcc
	v_lshlrev_b32_e32 v12, v12, v19
	v_cmp_ne_u32_e32 vcc, v7, v14
	v_cndmask_b32_e64 v7, 0, 1, vcc
	v_cmp_ne_u32_e32 vcc, v12, v16
	v_cndmask_b32_e64 v12, 0, 1, vcc
	v_or_b32_e32 v7, v18, v7
	v_cmp_gt_i32_e32 vcc, 1, v11
	v_cndmask_b32_e32 v7, v15, v7, vcc
	v_or_b32_e32 v12, v19, v12
	v_cmp_gt_i32_e32 vcc, 1, v13
	v_and_b32_e32 v14, 7, v7
	v_cndmask_b32_e32 v12, v17, v12, vcc
	v_cmp_lt_i32_e32 vcc, 5, v14
	v_cmp_eq_u32_e64 s[0:1], 3, v14
	v_lshrrev_b32_e32 v7, 2, v7
	v_and_b32_e32 v15, 7, v12
	s_or_b64 vcc, s[0:1], vcc
	v_cmp_lt_i32_e64 s[2:3], 5, v15
	v_cmp_eq_u32_e64 s[4:5], 3, v15
	v_addc_co_u32_e32 v7, vcc, 0, v7, vcc
	v_lshrrev_b32_e32 v12, 2, v12
	s_or_b64 vcc, s[4:5], s[2:3]
	v_addc_co_u32_e32 v12, vcc, 0, v12, vcc
	v_cmp_gt_i32_e32 vcc, 31, v11
	v_cndmask_b32_e32 v7, v0, v7, vcc
	v_cmp_gt_i32_e32 vcc, 31, v13
	v_lshl_or_b32 v5, v5, 9, v0
	v_cndmask_b32_e32 v12, v0, v12, vcc
	v_cmp_eq_u32_e32 vcc, s18, v11
	v_lshrrev_b32_e32 v8, 16, v8
	v_lshl_or_b32 v9, v9, 9, v0
	v_cndmask_b32_e32 v5, v7, v5, vcc
	v_cmp_eq_u32_e32 vcc, s18, v13
	v_lshrrev_b32_e32 v10, 16, v10
	v_cndmask_b32_e32 v7, v12, v9, vcc
	v_and_or_b32 v5, v8, s17, v5
	v_and_or_b32 v7, v10, s17, v7
	v_and_b32_e32 v5, 0xffff, v5
	v_lshl_or_b32 v5, v7, 16, v5
	global_store_dword v[3:4], v5, off
	global_load_dword v5, v28, s[6:7] offset:616
	v_lshrrev_b32_e32 v7, 16, v6
	v_mov_b32_e32 v9, s12
	v_add_co_u32_e32 v3, vcc, s11, v3
	v_addc_co_u32_e32 v4, vcc, v4, v9, vcc
	s_waitcnt vmcnt(0)
	v_mul_f16_sdwa v8, v7, v5 dst_sel:DWORD dst_unused:UNUSED_PAD src0_sel:DWORD src1_sel:WORD_1
	v_fma_f16 v8, v6, v5, v8
	v_mul_f16_sdwa v6, v6, v5 dst_sel:DWORD dst_unused:UNUSED_PAD src0_sel:DWORD src1_sel:WORD_1
	v_cvt_f32_f16_e32 v8, v8
	v_fma_f16 v5, v5, v7, -v6
	v_cvt_f32_f16_e32 v7, v5
	v_cvt_f64_f32_e32 v[5:6], v8
	v_cvt_f64_f32_e32 v[7:8], v7
	v_mul_f64 v[5:6], v[5:6], s[14:15]
	v_mul_f64 v[7:8], v[7:8], s[14:15]
	v_and_or_b32 v5, v6, s16, v5
	v_cmp_ne_u32_e32 vcc, 0, v5
	v_and_or_b32 v7, v8, s16, v7
	v_lshrrev_b32_e32 v9, 8, v6
	v_bfe_u32 v10, v6, 20, 11
	v_cndmask_b32_e64 v5, 0, 1, vcc
	v_cmp_ne_u32_e32 vcc, 0, v7
	v_lshrrev_b32_e32 v11, 8, v8
	v_bfe_u32 v12, v8, 20, 11
	v_sub_u32_e32 v13, 0x3f1, v10
	v_cndmask_b32_e64 v7, 0, 1, vcc
	v_and_or_b32 v5, v9, s10, v5
	v_sub_u32_e32 v14, 0x3f1, v12
	v_med3_i32 v9, v13, 0, 13
	v_and_or_b32 v7, v11, s10, v7
	v_or_b32_e32 v13, 0x1000, v5
	v_add_u32_e32 v10, 0xfffffc10, v10
	v_med3_i32 v11, v14, 0, 13
	v_cmp_ne_u32_e32 vcc, 0, v5
	v_or_b32_e32 v15, 0x1000, v7
	v_lshrrev_b32_e32 v17, v9, v13
	v_add_u32_e32 v12, 0xfffffc10, v12
	v_lshl_or_b32 v14, v10, 12, v5
	v_cndmask_b32_e64 v5, 0, 1, vcc
	v_cmp_ne_u32_e32 vcc, 0, v7
	v_lshrrev_b32_e32 v18, v11, v15
	v_lshlrev_b32_e32 v9, v9, v17
	v_lshl_or_b32 v16, v12, 12, v7
	v_cndmask_b32_e64 v7, 0, 1, vcc
	v_lshlrev_b32_e32 v11, v11, v18
	v_cmp_ne_u32_e32 vcc, v9, v13
	v_cndmask_b32_e64 v9, 0, 1, vcc
	v_cmp_ne_u32_e32 vcc, v11, v15
	v_cndmask_b32_e64 v11, 0, 1, vcc
	v_or_b32_e32 v9, v17, v9
	v_cmp_gt_i32_e32 vcc, 1, v10
	v_cndmask_b32_e32 v9, v14, v9, vcc
	v_or_b32_e32 v11, v18, v11
	v_cmp_gt_i32_e32 vcc, 1, v12
	v_and_b32_e32 v13, 7, v9
	v_cndmask_b32_e32 v11, v16, v11, vcc
	v_cmp_lt_i32_e32 vcc, 5, v13
	v_cmp_eq_u32_e64 s[0:1], 3, v13
	v_lshrrev_b32_e32 v9, 2, v9
	v_and_b32_e32 v14, 7, v11
	s_or_b64 vcc, s[0:1], vcc
	v_cmp_lt_i32_e64 s[2:3], 5, v14
	v_cmp_eq_u32_e64 s[4:5], 3, v14
	v_addc_co_u32_e32 v9, vcc, 0, v9, vcc
	v_lshrrev_b32_e32 v11, 2, v11
	s_or_b64 vcc, s[4:5], s[2:3]
	v_addc_co_u32_e32 v11, vcc, 0, v11, vcc
	v_cmp_gt_i32_e32 vcc, 31, v10
	v_cndmask_b32_e32 v9, v0, v9, vcc
	v_cmp_gt_i32_e32 vcc, 31, v12
	v_lshl_or_b32 v5, v5, 9, v0
	v_cndmask_b32_e32 v11, v0, v11, vcc
	v_cmp_eq_u32_e32 vcc, s18, v10
	v_lshrrev_b32_e32 v6, 16, v6
	v_lshl_or_b32 v7, v7, 9, v0
	v_cndmask_b32_e32 v5, v9, v5, vcc
	v_cmp_eq_u32_e32 vcc, s18, v12
	v_lshrrev_b32_e32 v8, 16, v8
	v_cndmask_b32_e32 v7, v11, v7, vcc
	v_and_or_b32 v5, v6, s17, v5
	v_and_or_b32 v6, v8, s17, v7
	v_and_b32_e32 v5, 0xffff, v5
	v_lshl_or_b32 v5, v6, 16, v5
	global_store_dword v[3:4], v5, off
	global_load_dword v7, v28, s[6:7] offset:660
	ds_read2_b32 v[5:6], v29 offset0:165 offset1:176
	v_add_co_u32_e32 v3, vcc, s11, v3
	s_waitcnt lgkmcnt(0)
	v_lshrrev_b32_e32 v8, 16, v5
	s_waitcnt vmcnt(0)
	v_mul_f16_sdwa v9, v8, v7 dst_sel:DWORD dst_unused:UNUSED_PAD src0_sel:DWORD src1_sel:WORD_1
	v_fma_f16 v9, v5, v7, v9
	v_mul_f16_sdwa v5, v5, v7 dst_sel:DWORD dst_unused:UNUSED_PAD src0_sel:DWORD src1_sel:WORD_1
	v_cvt_f32_f16_e32 v9, v9
	v_fma_f16 v5, v7, v8, -v5
	v_cvt_f32_f16_e32 v5, v5
	v_cvt_f64_f32_e32 v[7:8], v9
	v_cvt_f64_f32_e32 v[9:10], v5
	v_mov_b32_e32 v5, s12
	v_mul_f64 v[7:8], v[7:8], s[14:15]
	v_addc_co_u32_e32 v4, vcc, v4, v5, vcc
	v_mul_f64 v[9:10], v[9:10], s[14:15]
	v_and_or_b32 v5, v8, s16, v7
	v_cmp_ne_u32_e32 vcc, 0, v5
	v_lshrrev_b32_e32 v7, 8, v8
	v_and_or_b32 v9, v10, s16, v9
	v_bfe_u32 v11, v8, 20, 11
	v_cndmask_b32_e64 v5, 0, 1, vcc
	v_cmp_ne_u32_e32 vcc, 0, v9
	v_lshrrev_b32_e32 v12, 8, v10
	v_bfe_u32 v13, v10, 20, 11
	v_sub_u32_e32 v14, 0x3f1, v11
	v_cndmask_b32_e64 v9, 0, 1, vcc
	v_and_or_b32 v5, v7, s10, v5
	v_sub_u32_e32 v15, 0x3f1, v13
	v_med3_i32 v7, v14, 0, 13
	v_and_or_b32 v9, v12, s10, v9
	v_or_b32_e32 v14, 0x1000, v5
	v_add_u32_e32 v11, 0xfffffc10, v11
	v_med3_i32 v12, v15, 0, 13
	v_cmp_ne_u32_e32 vcc, 0, v5
	v_or_b32_e32 v16, 0x1000, v9
	v_lshrrev_b32_e32 v18, v7, v14
	v_add_u32_e32 v13, 0xfffffc10, v13
	v_lshl_or_b32 v15, v11, 12, v5
	v_cndmask_b32_e64 v5, 0, 1, vcc
	v_cmp_ne_u32_e32 vcc, 0, v9
	v_lshrrev_b32_e32 v19, v12, v16
	v_lshlrev_b32_e32 v7, v7, v18
	v_lshl_or_b32 v17, v13, 12, v9
	v_cndmask_b32_e64 v9, 0, 1, vcc
	v_lshlrev_b32_e32 v12, v12, v19
	v_cmp_ne_u32_e32 vcc, v7, v14
	v_cndmask_b32_e64 v7, 0, 1, vcc
	v_cmp_ne_u32_e32 vcc, v12, v16
	v_cndmask_b32_e64 v12, 0, 1, vcc
	v_or_b32_e32 v7, v18, v7
	v_cmp_gt_i32_e32 vcc, 1, v11
	v_cndmask_b32_e32 v7, v15, v7, vcc
	v_or_b32_e32 v12, v19, v12
	v_cmp_gt_i32_e32 vcc, 1, v13
	v_and_b32_e32 v14, 7, v7
	v_cndmask_b32_e32 v12, v17, v12, vcc
	v_cmp_lt_i32_e32 vcc, 5, v14
	v_cmp_eq_u32_e64 s[0:1], 3, v14
	v_lshrrev_b32_e32 v7, 2, v7
	v_and_b32_e32 v15, 7, v12
	s_or_b64 vcc, s[0:1], vcc
	v_cmp_lt_i32_e64 s[2:3], 5, v15
	v_cmp_eq_u32_e64 s[4:5], 3, v15
	v_addc_co_u32_e32 v7, vcc, 0, v7, vcc
	v_lshrrev_b32_e32 v12, 2, v12
	s_or_b64 vcc, s[4:5], s[2:3]
	v_addc_co_u32_e32 v12, vcc, 0, v12, vcc
	v_cmp_gt_i32_e32 vcc, 31, v11
	v_cndmask_b32_e32 v7, v0, v7, vcc
	v_cmp_gt_i32_e32 vcc, 31, v13
	v_lshl_or_b32 v5, v5, 9, v0
	v_cndmask_b32_e32 v12, v0, v12, vcc
	v_cmp_eq_u32_e32 vcc, s18, v11
	v_lshrrev_b32_e32 v8, 16, v8
	v_lshl_or_b32 v9, v9, 9, v0
	v_cndmask_b32_e32 v5, v7, v5, vcc
	v_cmp_eq_u32_e32 vcc, s18, v13
	v_lshrrev_b32_e32 v10, 16, v10
	v_cndmask_b32_e32 v7, v12, v9, vcc
	v_and_or_b32 v5, v8, s17, v5
	v_and_or_b32 v7, v10, s17, v7
	v_and_b32_e32 v5, 0xffff, v5
	v_lshl_or_b32 v5, v7, 16, v5
	global_store_dword v[3:4], v5, off
	global_load_dword v5, v28, s[6:7] offset:704
	v_lshrrev_b32_e32 v7, 16, v6
	v_or_b32_e32 v9, 0xb0, v27
	v_mad_u64_u32 v[3:4], s[0:1], s8, v9, 0
	s_waitcnt vmcnt(0)
	v_mul_f16_sdwa v8, v7, v5 dst_sel:DWORD dst_unused:UNUSED_PAD src0_sel:DWORD src1_sel:WORD_1
	v_fma_f16 v8, v6, v5, v8
	v_cvt_f32_f16_e32 v8, v8
	v_mul_f16_sdwa v6, v6, v5 dst_sel:DWORD dst_unused:UNUSED_PAD src0_sel:DWORD src1_sel:WORD_1
	v_fma_f16 v5, v5, v7, -v6
	v_cvt_f32_f16_e32 v7, v5
	v_cvt_f64_f32_e32 v[5:6], v8
	v_cvt_f64_f32_e32 v[7:8], v7
	v_mul_f64 v[5:6], v[5:6], s[14:15]
	v_mul_f64 v[7:8], v[7:8], s[14:15]
	v_mad_u64_u32 v[9:10], s[0:1], s9, v9, v[4:5]
	v_and_or_b32 v5, v6, s16, v5
	v_and_or_b32 v7, v8, s16, v7
	v_cmp_ne_u32_e32 vcc, 0, v5
	v_mov_b32_e32 v4, v9
	v_lshrrev_b32_e32 v9, 8, v6
	v_bfe_u32 v10, v6, 20, 11
	v_cndmask_b32_e64 v5, 0, 1, vcc
	v_cmp_ne_u32_e32 vcc, 0, v7
	v_lshrrev_b32_e32 v11, 8, v8
	v_bfe_u32 v12, v8, 20, 11
	v_sub_u32_e32 v13, 0x3f1, v10
	v_cndmask_b32_e64 v7, 0, 1, vcc
	v_and_or_b32 v5, v9, s10, v5
	v_sub_u32_e32 v14, 0x3f1, v12
	v_med3_i32 v9, v13, 0, 13
	v_and_or_b32 v7, v11, s10, v7
	v_or_b32_e32 v13, 0x1000, v5
	v_add_u32_e32 v10, 0xfffffc10, v10
	v_med3_i32 v11, v14, 0, 13
	v_cmp_ne_u32_e32 vcc, 0, v5
	v_or_b32_e32 v15, 0x1000, v7
	v_lshrrev_b32_e32 v17, v9, v13
	v_add_u32_e32 v12, 0xfffffc10, v12
	v_lshl_or_b32 v14, v10, 12, v5
	v_cndmask_b32_e64 v5, 0, 1, vcc
	v_cmp_ne_u32_e32 vcc, 0, v7
	v_lshrrev_b32_e32 v18, v11, v15
	v_lshlrev_b32_e32 v9, v9, v17
	v_lshl_or_b32 v16, v12, 12, v7
	v_cndmask_b32_e64 v7, 0, 1, vcc
	v_lshlrev_b32_e32 v11, v11, v18
	v_cmp_ne_u32_e32 vcc, v9, v13
	v_cndmask_b32_e64 v9, 0, 1, vcc
	v_cmp_ne_u32_e32 vcc, v11, v15
	v_cndmask_b32_e64 v11, 0, 1, vcc
	v_or_b32_e32 v9, v17, v9
	v_cmp_gt_i32_e32 vcc, 1, v10
	v_cndmask_b32_e32 v9, v14, v9, vcc
	v_or_b32_e32 v11, v18, v11
	v_cmp_gt_i32_e32 vcc, 1, v12
	v_and_b32_e32 v13, 7, v9
	v_cndmask_b32_e32 v11, v16, v11, vcc
	v_cmp_lt_i32_e32 vcc, 5, v13
	v_cmp_eq_u32_e64 s[0:1], 3, v13
	v_lshrrev_b32_e32 v9, 2, v9
	v_and_b32_e32 v14, 7, v11
	s_or_b64 vcc, s[0:1], vcc
	v_cmp_lt_i32_e64 s[2:3], 5, v14
	v_cmp_eq_u32_e64 s[4:5], 3, v14
	v_addc_co_u32_e32 v9, vcc, 0, v9, vcc
	v_lshrrev_b32_e32 v11, 2, v11
	s_or_b64 vcc, s[4:5], s[2:3]
	v_addc_co_u32_e32 v11, vcc, 0, v11, vcc
	v_cmp_gt_i32_e32 vcc, 31, v10
	v_cndmask_b32_e32 v9, v0, v9, vcc
	v_cmp_gt_i32_e32 vcc, 31, v12
	v_lshl_or_b32 v5, v5, 9, v0
	v_lshl_or_b32 v7, v7, 9, v0
	v_cndmask_b32_e32 v0, v0, v11, vcc
	v_cmp_eq_u32_e32 vcc, s18, v10
	v_lshrrev_b32_e32 v6, 16, v6
	v_cndmask_b32_e32 v5, v9, v5, vcc
	v_cmp_eq_u32_e32 vcc, s18, v12
	v_lshlrev_b64 v[3:4], 2, v[3:4]
	v_lshrrev_b32_e32 v8, 16, v8
	v_cndmask_b32_e32 v0, v0, v7, vcc
	v_and_or_b32 v5, v6, s17, v5
	v_and_or_b32 v0, v8, s17, v0
	v_and_b32_e32 v5, 0xffff, v5
	v_lshl_or_b32 v5, v0, 16, v5
	v_add_co_u32_e32 v0, vcc, v1, v3
	v_addc_co_u32_e32 v1, vcc, v2, v4, vcc
	global_store_dword v[0:1], v5, off
.LBB0_15:
	s_endpgm
	.section	.rodata,"a",@progbits
	.p2align	6, 0x0
	.amdhsa_kernel bluestein_single_back_len187_dim1_half_op_CI_CI
		.amdhsa_group_segment_fixed_size 5236
		.amdhsa_private_segment_fixed_size 0
		.amdhsa_kernarg_size 104
		.amdhsa_user_sgpr_count 6
		.amdhsa_user_sgpr_private_segment_buffer 1
		.amdhsa_user_sgpr_dispatch_ptr 0
		.amdhsa_user_sgpr_queue_ptr 0
		.amdhsa_user_sgpr_kernarg_segment_ptr 1
		.amdhsa_user_sgpr_dispatch_id 0
		.amdhsa_user_sgpr_flat_scratch_init 0
		.amdhsa_user_sgpr_private_segment_size 0
		.amdhsa_uses_dynamic_stack 0
		.amdhsa_system_sgpr_private_segment_wavefront_offset 0
		.amdhsa_system_sgpr_workgroup_id_x 1
		.amdhsa_system_sgpr_workgroup_id_y 0
		.amdhsa_system_sgpr_workgroup_id_z 0
		.amdhsa_system_sgpr_workgroup_info 0
		.amdhsa_system_vgpr_workitem_id 0
		.amdhsa_next_free_vgpr 255
		.amdhsa_next_free_sgpr 35
		.amdhsa_reserve_vcc 1
		.amdhsa_reserve_flat_scratch 0
		.amdhsa_float_round_mode_32 0
		.amdhsa_float_round_mode_16_64 0
		.amdhsa_float_denorm_mode_32 3
		.amdhsa_float_denorm_mode_16_64 3
		.amdhsa_dx10_clamp 1
		.amdhsa_ieee_mode 1
		.amdhsa_fp16_overflow 0
		.amdhsa_exception_fp_ieee_invalid_op 0
		.amdhsa_exception_fp_denorm_src 0
		.amdhsa_exception_fp_ieee_div_zero 0
		.amdhsa_exception_fp_ieee_overflow 0
		.amdhsa_exception_fp_ieee_underflow 0
		.amdhsa_exception_fp_ieee_inexact 0
		.amdhsa_exception_int_div_zero 0
	.end_amdhsa_kernel
	.text
.Lfunc_end0:
	.size	bluestein_single_back_len187_dim1_half_op_CI_CI, .Lfunc_end0-bluestein_single_back_len187_dim1_half_op_CI_CI
                                        ; -- End function
	.section	.AMDGPU.csdata,"",@progbits
; Kernel info:
; codeLenInByte = 26924
; NumSgprs: 39
; NumVgprs: 255
; ScratchSize: 0
; MemoryBound: 0
; FloatMode: 240
; IeeeMode: 1
; LDSByteSize: 5236 bytes/workgroup (compile time only)
; SGPRBlocks: 4
; VGPRBlocks: 63
; NumSGPRsForWavesPerEU: 39
; NumVGPRsForWavesPerEU: 255
; Occupancy: 1
; WaveLimiterHint : 1
; COMPUTE_PGM_RSRC2:SCRATCH_EN: 0
; COMPUTE_PGM_RSRC2:USER_SGPR: 6
; COMPUTE_PGM_RSRC2:TRAP_HANDLER: 0
; COMPUTE_PGM_RSRC2:TGID_X_EN: 1
; COMPUTE_PGM_RSRC2:TGID_Y_EN: 0
; COMPUTE_PGM_RSRC2:TGID_Z_EN: 0
; COMPUTE_PGM_RSRC2:TIDIG_COMP_CNT: 0
	.type	__hip_cuid_d1613531de22f247,@object ; @__hip_cuid_d1613531de22f247
	.section	.bss,"aw",@nobits
	.globl	__hip_cuid_d1613531de22f247
__hip_cuid_d1613531de22f247:
	.byte	0                               ; 0x0
	.size	__hip_cuid_d1613531de22f247, 1

	.ident	"AMD clang version 19.0.0git (https://github.com/RadeonOpenCompute/llvm-project roc-6.4.0 25133 c7fe45cf4b819c5991fe208aaa96edf142730f1d)"
	.section	".note.GNU-stack","",@progbits
	.addrsig
	.addrsig_sym __hip_cuid_d1613531de22f247
	.amdgpu_metadata
---
amdhsa.kernels:
  - .args:
      - .actual_access:  read_only
        .address_space:  global
        .offset:         0
        .size:           8
        .value_kind:     global_buffer
      - .actual_access:  read_only
        .address_space:  global
        .offset:         8
        .size:           8
        .value_kind:     global_buffer
      - .actual_access:  read_only
        .address_space:  global
        .offset:         16
        .size:           8
        .value_kind:     global_buffer
      - .actual_access:  read_only
        .address_space:  global
        .offset:         24
        .size:           8
        .value_kind:     global_buffer
      - .actual_access:  read_only
        .address_space:  global
        .offset:         32
        .size:           8
        .value_kind:     global_buffer
      - .offset:         40
        .size:           8
        .value_kind:     by_value
      - .address_space:  global
        .offset:         48
        .size:           8
        .value_kind:     global_buffer
      - .address_space:  global
        .offset:         56
        .size:           8
        .value_kind:     global_buffer
      - .address_space:  global
        .offset:         64
        .size:           8
        .value_kind:     global_buffer
      - .address_space:  global
        .offset:         72
        .size:           8
        .value_kind:     global_buffer
      - .offset:         80
        .size:           4
        .value_kind:     by_value
      - .address_space:  global
        .offset:         88
        .size:           8
        .value_kind:     global_buffer
      - .address_space:  global
        .offset:         96
        .size:           8
        .value_kind:     global_buffer
    .group_segment_fixed_size: 5236
    .kernarg_segment_align: 8
    .kernarg_segment_size: 104
    .language:       OpenCL C
    .language_version:
      - 2
      - 0
    .max_flat_workgroup_size: 119
    .name:           bluestein_single_back_len187_dim1_half_op_CI_CI
    .private_segment_fixed_size: 0
    .sgpr_count:     39
    .sgpr_spill_count: 0
    .symbol:         bluestein_single_back_len187_dim1_half_op_CI_CI.kd
    .uniform_work_group_size: 1
    .uses_dynamic_stack: false
    .vgpr_count:     255
    .vgpr_spill_count: 0
    .wavefront_size: 64
amdhsa.target:   amdgcn-amd-amdhsa--gfx906
amdhsa.version:
  - 1
  - 2
...

	.end_amdgpu_metadata
